;; amdgpu-corpus repo=ROCm/rocFFT kind=compiled arch=gfx1030 opt=O3
	.text
	.amdgcn_target "amdgcn-amd-amdhsa--gfx1030"
	.amdhsa_code_object_version 6
	.protected	bluestein_single_fwd_len1092_dim1_sp_op_CI_CI ; -- Begin function bluestein_single_fwd_len1092_dim1_sp_op_CI_CI
	.globl	bluestein_single_fwd_len1092_dim1_sp_op_CI_CI
	.p2align	8
	.type	bluestein_single_fwd_len1092_dim1_sp_op_CI_CI,@function
bluestein_single_fwd_len1092_dim1_sp_op_CI_CI: ; @bluestein_single_fwd_len1092_dim1_sp_op_CI_CI
; %bb.0:
	s_load_dwordx4 s[8:11], s[4:5], 0x28
	v_mul_u32_u24_e32 v1, 0x4ed, v0
	v_mov_b32_e32 v157, 0
	s_mov_b32 s0, exec_lo
	v_lshrrev_b32_e32 v1, 16, v1
	v_add_nc_u32_e32 v156, s6, v1
	s_waitcnt lgkmcnt(0)
	v_cmpx_gt_u64_e64 s[8:9], v[156:157]
	s_cbranch_execz .LBB0_31
; %bb.1:
	s_clause 0x1
	s_load_dwordx4 s[0:3], s[4:5], 0x18
	s_load_dwordx2 s[6:7], s[4:5], 0x0
	v_mul_lo_u16 v1, v1, 52
	v_sub_nc_u16 v50, v0, v1
	v_and_b32_e32 v180, 0xffff, v50
	v_lshlrev_b32_e32 v179, 3, v180
	s_waitcnt lgkmcnt(0)
	s_load_dwordx4 s[12:15], s[0:1], 0x0
	s_clause 0x4
	global_load_dwordx2 v[167:168], v179, s[6:7]
	global_load_dwordx2 v[165:166], v179, s[6:7] offset:416
	global_load_dwordx2 v[157:158], v179, s[6:7] offset:832
	;; [unrolled: 1-line block ×4, first 2 shown]
	v_add_co_u32 v88, s0, s6, v179
	v_add_co_ci_u32_e64 v89, null, s7, 0, s0
	v_add_co_u32 v130, vcc_lo, 0x1000, v88
	v_add_co_ci_u32_e32 v131, vcc_lo, 0, v89, vcc_lo
	v_add_co_u32 v2, vcc_lo, 0x800, v88
	v_add_co_ci_u32_e32 v3, vcc_lo, 0, v89, vcc_lo
	v_add_co_u32 v6, vcc_lo, 0x1800, v88
	v_add_co_ci_u32_e32 v7, vcc_lo, 0, v89, vcc_lo
	s_waitcnt lgkmcnt(0)
	v_mad_u64_u32 v[0:1], null, s14, v156, 0
	v_mad_u64_u32 v[4:5], null, s12, v180, 0
	s_mul_i32 s1, s13, 0x222
	s_mul_hi_u32 s7, s12, 0x222
	s_mul_i32 s0, s12, 0x222
	s_mul_hi_u32 s9, s12, 0xfffffe12
	v_mad_u64_u32 v[8:9], null, s15, v156, v[1:2]
	v_mad_u64_u32 v[9:10], null, s13, v180, v[5:6]
	s_add_i32 s1, s7, s1
	s_mul_i32 s8, s13, 0xfffffe12
	s_mul_i32 s6, s12, 0xfffffe12
	s_sub_i32 s7, s9, s12
	v_mov_b32_e32 v1, v8
	s_lshl_b64 s[12:13], s[0:1], 3
	v_mov_b32_e32 v5, v9
	s_add_i32 s7, s7, s8
	s_clause 0x4
	global_load_dwordx2 v[171:172], v[130:131], off offset:272
	global_load_dwordx2 v[169:170], v[130:131], off offset:688
	;; [unrolled: 1-line block ×5, first 2 shown]
	v_lshlrev_b64 v[0:1], 3, v[0:1]
	s_lshl_b64 s[0:1], s[6:7], 3
	v_lshlrev_b64 v[4:5], 3, v[4:5]
	s_clause 0x7
	global_load_dwordx2 v[148:149], v[2:3], off offset:32
	global_load_dwordx2 v[140:141], v[2:3], off offset:448
	;; [unrolled: 1-line block ×8, first 2 shown]
	v_add_co_u32 v0, vcc_lo, s10, v0
	v_add_co_ci_u32_e32 v1, vcc_lo, s11, v1, vcc_lo
	v_add_co_u32 v0, vcc_lo, v0, v4
	v_add_co_ci_u32_e32 v1, vcc_lo, v1, v5, vcc_lo
	;; [unrolled: 2-line block ×3, first 2 shown]
	global_load_dwordx2 v[12:13], v[0:1], off
	v_add_co_u32 v8, vcc_lo, v4, s0
	v_add_co_ci_u32_e32 v9, vcc_lo, s1, v5, vcc_lo
	v_add_co_u32 v10, vcc_lo, v8, s12
	v_add_co_ci_u32_e32 v11, vcc_lo, s13, v9, vcc_lo
	v_add_co_u32 v0, vcc_lo, v10, s0
	v_add_co_ci_u32_e32 v1, vcc_lo, s1, v11, vcc_lo
	s_clause 0x2
	global_load_dwordx2 v[14:15], v[4:5], off
	global_load_dwordx2 v[8:9], v[8:9], off
	global_load_dwordx2 v[10:11], v[10:11], off
	v_add_co_u32 v4, vcc_lo, v0, s12
	v_add_co_ci_u32_e32 v5, vcc_lo, s13, v1, vcc_lo
	global_load_dwordx2 v[16:17], v[0:1], off
	v_add_co_u32 v0, vcc_lo, v4, s0
	v_add_co_ci_u32_e32 v1, vcc_lo, s1, v5, vcc_lo
	global_load_dwordx2 v[18:19], v[4:5], off
	;; [unrolled: 3-line block ×14, first 2 shown]
	v_add_co_u32 v0, vcc_lo, v42, s12
	v_add_co_ci_u32_e32 v1, vcc_lo, s13, v43, vcc_lo
	global_load_dwordx2 v[142:143], v[2:3], off offset:1696
	global_load_dwordx2 v[42:43], v[42:43], off
	global_load_dwordx2 v[144:145], v[6:7], off offset:1968
	global_load_dwordx2 v[6:7], v[0:1], off
	s_load_dwordx2 s[6:7], s[4:5], 0x38
	s_load_dwordx4 s[8:11], s[2:3], 0x0
	v_add_nc_u32_e32 v4, 0x1000, v179
	v_add_nc_u32_e32 v3, 0x400, v179
	;; [unrolled: 1-line block ×3, first 2 shown]
	v_cmp_gt_u16_e32 vcc_lo, 26, v50
	s_waitcnt vmcnt(21)
	v_mul_f32_e32 v46, v13, v168
	v_mul_f32_e32 v5, v12, v168
	v_fmac_f32_e32 v46, v12, v167
	v_fma_f32 v47, v13, v167, -v5
	v_add_nc_u32_e32 v5, 0x800, v179
	s_waitcnt vmcnt(20)
	v_mul_f32_e32 v12, v15, v172
	v_mul_f32_e32 v49, v14, v172
	s_waitcnt vmcnt(19)
	v_mul_f32_e32 v48, v9, v166
	v_mul_f32_e32 v51, v8, v166
	v_fmac_f32_e32 v12, v14, v171
	v_fma_f32 v13, v15, v171, -v49
	v_fmac_f32_e32 v48, v8, v165
	s_waitcnt vmcnt(18)
	v_mul_f32_e32 v8, v11, v170
	v_fma_f32 v49, v9, v165, -v51
	v_mul_f32_e32 v9, v10, v170
	ds_write_b64 v179, v[12:13] offset:4368
	s_waitcnt vmcnt(16)
	v_mul_f32_e32 v13, v18, v164
	v_fmac_f32_e32 v8, v10, v169
	v_mul_f32_e32 v10, v19, v164
	v_mul_f32_e32 v14, v16, v158
	v_fma_f32 v9, v11, v169, -v9
	v_fma_f32 v11, v19, v163, -v13
	v_mul_f32_e32 v12, v17, v158
	v_fmac_f32_e32 v10, v18, v163
	ds_write2_b64 v179, v[46:47], v[48:49] offset1:52
	v_fma_f32 v13, v17, v157, -v14
	s_waitcnt vmcnt(15)
	v_mul_f32_e32 v14, v21, v153
	v_mul_f32_e32 v15, v20, v153
	ds_write2_b64 v4, v[8:9], v[10:11] offset0:86 offset1:138
	v_fmac_f32_e32 v12, v16, v157
	s_waitcnt vmcnt(14)
	v_mul_f32_e32 v8, v23, v162
	s_waitcnt vmcnt(13)
	v_mul_f32_e32 v10, v25, v147
	v_mul_f32_e32 v11, v24, v147
	;; [unrolled: 1-line block ×3, first 2 shown]
	v_fmac_f32_e32 v14, v20, v152
	v_fma_f32 v15, v21, v152, -v15
	s_waitcnt vmcnt(12)
	v_mul_f32_e32 v16, v27, v155
	v_mul_f32_e32 v17, v26, v155
	v_fmac_f32_e32 v10, v24, v146
	v_fma_f32 v11, v25, v146, -v11
	v_fmac_f32_e32 v8, v22, v161
	s_waitcnt vmcnt(11)
	v_mul_f32_e32 v18, v29, v149
	v_mul_f32_e32 v19, v28, v149
	v_fma_f32 v9, v23, v161, -v9
	v_fmac_f32_e32 v16, v26, v154
	v_fma_f32 v17, v27, v154, -v17
	v_fmac_f32_e32 v18, v28, v148
	v_fma_f32 v19, v29, v148, -v19
	s_waitcnt vmcnt(10)
	v_mul_f32_e32 v20, v31, v160
	ds_write2_b64 v179, v[12:13], v[14:15] offset0:104 offset1:156
	ds_write2_b64 v4, v[8:9], v[16:17] offset0:190 offset1:242
	v_mul_f32_e32 v9, v30, v160
	s_waitcnt vmcnt(9)
	v_mul_f32_e32 v13, v32, v141
	ds_write2_b64 v3, v[10:11], v[18:19] offset0:80 offset1:132
	v_fmac_f32_e32 v20, v30, v159
	v_mul_f32_e32 v10, v33, v141
	v_fma_f32 v21, v31, v159, -v9
	s_waitcnt vmcnt(8)
	v_mul_f32_e32 v8, v35, v151
	v_mul_f32_e32 v11, v34, v151
	v_fmac_f32_e32 v10, v32, v140
	v_fmac_f32_e32 v8, v34, v150
	v_fma_f32 v9, v35, v150, -v11
	s_waitcnt vmcnt(7)
	v_mul_f32_e32 v14, v36, v133
	v_mul_f32_e32 v12, v37, v133
	v_fma_f32 v11, v33, v140, -v13
	ds_write2_b64 v2, v[20:21], v[8:9] offset0:38 offset1:90
	s_waitcnt vmcnt(6)
	v_mul_f32_e32 v8, v39, v139
	v_mul_f32_e32 v9, v38, v139
	v_fma_f32 v13, v37, v132, -v14
	s_waitcnt vmcnt(5)
	v_mul_f32_e32 v14, v41, v137
	v_mul_f32_e32 v15, v40, v137
	v_fmac_f32_e32 v12, v36, v132
	v_fmac_f32_e32 v8, v38, v138
	v_fma_f32 v9, v39, v138, -v9
	s_waitcnt vmcnt(4)
	v_mul_f32_e32 v16, v45, v135
	v_mul_f32_e32 v17, v44, v135
	v_fmac_f32_e32 v14, v40, v136
	s_waitcnt vmcnt(2)
	v_mul_f32_e32 v18, v43, v143
	v_mul_f32_e32 v19, v42, v143
	s_waitcnt vmcnt(0)
	v_mul_f32_e32 v20, v7, v145
	v_mul_f32_e32 v21, v6, v145
	v_fmac_f32_e32 v16, v44, v134
	v_fma_f32 v17, v45, v134, -v17
	v_fma_f32 v15, v41, v136, -v15
	v_fmac_f32_e32 v18, v42, v142
	v_fma_f32 v19, v43, v142, -v19
	v_fmac_f32_e32 v20, v6, v144
	v_fma_f32 v21, v7, v144, -v21
	ds_write2_b64 v5, v[10:11], v[12:13] offset0:56 offset1:108
	ds_write2_b64 v2, v[8:9], v[16:17] offset0:142 offset1:194
	;; [unrolled: 1-line block ×3, first 2 shown]
	ds_write_b64 v179, v[20:21] offset:8112
	s_and_saveexec_b32 s2, vcc_lo
	s_cbranch_execz .LBB0_3
; %bb.2:
	v_add_co_u32 v0, s0, v0, s0
	v_add_co_ci_u32_e64 v1, s0, s1, v1, s0
	v_add_co_u32 v6, s0, 0x2000, v88
	v_add_co_ci_u32_e64 v7, s0, 0, v89, s0
	v_add_co_u32 v8, s0, v0, s12
	v_add_co_ci_u32_e64 v9, s0, s13, v1, s0
	global_load_dwordx2 v[0:1], v[0:1], off
	s_clause 0x1
	global_load_dwordx2 v[10:11], v[130:131], off offset:64
	global_load_dwordx2 v[6:7], v[6:7], off offset:336
	global_load_dwordx2 v[8:9], v[8:9], off
	s_waitcnt vmcnt(2)
	v_mul_f32_e32 v12, v1, v11
	v_mul_f32_e32 v11, v0, v11
	s_waitcnt vmcnt(0)
	v_mul_f32_e32 v14, v9, v7
	v_mul_f32_e32 v7, v8, v7
	v_fmac_f32_e32 v12, v0, v10
	v_fma_f32 v13, v1, v10, -v11
	v_fmac_f32_e32 v14, v8, v6
	v_fma_f32 v15, v9, v6, -v7
	ds_write_b64 v179, v[12:13] offset:4160
	ds_write_b64 v179, v[14:15] offset:8528
.LBB0_3:
	s_or_b32 exec_lo, exec_lo, s2
	v_add_nc_u32_e32 v0, 0x1400, v179
	s_waitcnt lgkmcnt(0)
	s_barrier
	buffer_gl0_inv
	ds_read2_b64 v[15:18], v179 offset1:52
	ds_read2_b64 v[39:42], v4 offset0:34 offset1:86
	ds_read2_b64 v[27:30], v179 offset0:104 offset1:156
	;; [unrolled: 1-line block ×9, first 2 shown]
                                        ; implicit-def: $vgpr43
                                        ; implicit-def: $vgpr0
	s_and_saveexec_b32 s0, vcc_lo
	s_cbranch_execz .LBB0_5
; %bb.4:
	ds_read_b64 v[0:1], v179 offset:4160
	ds_read_b64 v[43:44], v179 offset:8528
.LBB0_5:
	s_or_b32 exec_lo, exec_lo, s0
	s_load_dwordx2 s[2:3], s[4:5], 0x8
	s_waitcnt lgkmcnt(0)
	v_sub_f32_e32 v41, v17, v41
	v_sub_f32_e32 v42, v18, v42
	;; [unrolled: 1-line block ×10, first 2 shown]
	v_fma_f32 v39, v17, 2.0, -v41
	v_sub_f32_e32 v17, v29, v37
	v_fma_f32 v40, v18, 2.0, -v42
	v_sub_f32_e32 v18, v30, v38
	v_sub_f32_e32 v31, v19, v31
	;; [unrolled: 1-line block ×3, first 2 shown]
	v_fma_f32 v33, v21, 2.0, -v35
	v_sub_f32_e32 v21, v7, v23
	v_fma_f32 v34, v22, 2.0, -v36
	v_sub_f32_e32 v22, v8, v24
	v_add_co_u32 v81, null, v180, 52
	v_add_co_u32 v80, null, 0x68, v180
	;; [unrolled: 1-line block ×5, first 2 shown]
	v_lshlrev_b32_e32 v45, 1, v180
	v_add_co_u32 v46, null, 0x208, v180
	v_fma_f32 v47, v15, 2.0, -v49
	v_fma_f32 v48, v16, 2.0, -v50
	;; [unrolled: 1-line block ×4, first 2 shown]
	v_sub_f32_e32 v2, v0, v43
	v_sub_f32_e32 v3, v1, v44
	v_lshlrev_b32_e32 v126, 4, v180
	v_sub_f32_e32 v26, v10, v26
	v_sub_f32_e32 v12, v4, v12
	v_fma_f32 v15, v29, 2.0, -v17
	v_fma_f32 v16, v30, 2.0, -v18
	;; [unrolled: 1-line block ×6, first 2 shown]
	v_sub_f32_e32 v7, v5, v13
	v_sub_f32_e32 v8, v6, v14
	v_fma_f32 v51, v27, 2.0, -v53
	v_fma_f32 v52, v28, 2.0, -v54
	;; [unrolled: 1-line block ×4, first 2 shown]
	s_barrier
	v_lshlrev_b32_e32 v127, 4, v81
	buffer_gl0_inv
	ds_write_b128 v126, v[47:50]
	v_lshlrev_b32_e32 v128, 4, v80
	v_lshlrev_b32_e32 v78, 1, v81
	;; [unrolled: 1-line block ×5, first 2 shown]
	v_add_nc_u32_e32 v76, 0x138, v45
	v_lshlrev_b32_e32 v184, 4, v56
	v_lshlrev_b32_e32 v44, 1, v55
	;; [unrolled: 1-line block ×5, first 2 shown]
	v_add_nc_u32_e32 v197, 0x2d8, v45
	v_add_nc_u32_e32 v198, 0x340, v45
	;; [unrolled: 1-line block ×3, first 2 shown]
	v_lshlrev_b32_e32 v185, 4, v46
	v_fma_f32 v24, v10, 2.0, -v26
	v_fma_f32 v10, v4, 2.0, -v12
	;; [unrolled: 1-line block ×4, first 2 shown]
	ds_write_b128 v127, v[39:42]
	ds_write_b128 v128, v[51:54]
	ds_write_b128 v79, v[15:18] offset:2496
	ds_write_b128 v129, v[29:32]
	ds_write_b128 v184, v[33:36]
	;; [unrolled: 1-line block ×3, first 2 shown]
	ds_write_b128 v79, v[23:26] offset:5824
	ds_write_b128 v79, v[9:12] offset:6656
	;; [unrolled: 1-line block ×3, first 2 shown]
	s_and_saveexec_b32 s0, vcc_lo
	s_cbranch_execz .LBB0_7
; %bb.6:
	ds_write_b128 v185, v[0:3]
.LBB0_7:
	s_or_b32 exec_lo, exec_lo, s0
	v_add_nc_u32_e32 v12, 0x1000, v179
	v_add_nc_u32_e32 v13, 0x400, v179
	v_add_nc_u32_e32 v14, 0x1400, v179
	v_add_nc_u32_e32 v16, 0x800, v179
	v_add_nc_u32_e32 v36, 0x1800, v179
	s_waitcnt lgkmcnt(0)
	s_barrier
	buffer_gl0_inv
	ds_read2_b64 v[4:7], v179 offset1:52
	ds_read2_b64 v[24:27], v12 offset0:34 offset1:86
	ds_read2_b64 v[8:11], v179 offset0:104 offset1:156
	;; [unrolled: 1-line block ×9, first 2 shown]
	s_and_saveexec_b32 s0, vcc_lo
	s_cbranch_execz .LBB0_9
; %bb.8:
	ds_read_b64 v[0:1], v179 offset:4160
	ds_read_b64 v[2:3], v179 offset:8528
.LBB0_9:
	s_or_b32 exec_lo, exec_lo, s0
	v_and_b32_e32 v182, 1, v180
	v_lshlrev_b32_e32 v183, 1, v46
	v_lshlrev_b32_e32 v49, 3, v182
	v_and_or_b32 v45, 0x7c, v45, v182
	v_and_or_b32 v50, 0x1fc, v76, v182
	;; [unrolled: 1-line block ×4, first 2 shown]
	global_load_dwordx2 v[173:174], v49, s[2:3]
	v_and_or_b32 v52, 0x3fc, v198, v182
	v_and_or_b32 v53, 0x7fc, v199, v182
	;; [unrolled: 1-line block ×6, first 2 shown]
	v_lshlrev_b32_e32 v196, 3, v45
	v_lshlrev_b32_e32 v193, 3, v50
	;; [unrolled: 1-line block ×10, first 2 shown]
	s_waitcnt vmcnt(0) lgkmcnt(0)
	s_barrier
	buffer_gl0_inv
	v_mul_f32_e32 v44, v25, v174
	v_mul_f32_e32 v45, v24, v174
	;; [unrolled: 1-line block ×22, first 2 shown]
	v_fma_f32 v24, v24, v173, -v44
	v_fmac_f32_e32 v45, v25, v173
	v_fmac_f32_e32 v47, v27, v173
	v_fma_f32 v27, v42, v173, -v50
	v_fma_f32 v32, v32, v173, -v52
	v_fmac_f32_e32 v53, v33, v173
	v_fma_f32 v33, v34, v173, -v54
	v_fmac_f32_e32 v55, v35, v173
	;; [unrolled: 2-line block ×6, first 2 shown]
	v_fma_f32 v25, v26, v173, -v46
	v_fma_f32 v26, v40, v173, -v48
	v_fmac_f32_e32 v49, v41, v173
	v_fmac_f32_e32 v51, v43, v173
	v_fma_f32 v34, v28, v173, -v56
	v_fmac_f32_e32 v57, v29, v173
	v_sub_f32_e32 v2, v4, v24
	v_sub_f32_e32 v3, v5, v45
	;; [unrolled: 1-line block ×22, first 2 shown]
	v_fma_f32 v4, v4, 2.0, -v2
	v_fma_f32 v5, v5, 2.0, -v3
	;; [unrolled: 1-line block ×22, first 2 shown]
	ds_write2_b64 v196, v[4:5], v[2:3] offset1:2
	ds_write2_b64 v195, v[6:7], v[28:29] offset1:2
	;; [unrolled: 1-line block ×10, first 2 shown]
	s_and_saveexec_b32 s0, vcc_lo
	s_cbranch_execz .LBB0_11
; %bb.10:
	v_and_or_b32 v0, 0x47c, v183, v182
	v_lshlrev_b32_e32 v0, 3, v0
	ds_write2_b64 v0, v[34:35], v[36:37] offset1:2
.LBB0_11:
	s_or_b32 exec_lo, exec_lo, s0
	v_add_nc_u32_e32 v0, 0x800, v179
	v_add_nc_u32_e32 v3, 0xc00, v179
	;; [unrolled: 1-line block ×4, first 2 shown]
	s_waitcnt lgkmcnt(0)
	s_barrier
	buffer_gl0_inv
	ds_read2_b64 v[28:31], v179 offset1:84
	ds_read2_b64 v[64:67], v179 offset0:168 offset1:252
	ds_read2_b64 v[60:63], v0 offset0:80 offset1:164
	;; [unrolled: 1-line block ×5, first 2 shown]
	ds_read_b64 v[72:73], v179 offset:8064
	v_cmp_gt_u16_e64 s0, 32, v180
                                        ; implicit-def: $vgpr68
                                        ; implicit-def: $vgpr74
	s_and_saveexec_b32 s1, s0
	s_cbranch_execz .LBB0_13
; %bb.12:
	v_add_nc_u32_e32 v3, 0x400, v179
	v_add_nc_u32_e32 v4, 0x1400, v179
	ds_read2_b64 v[24:27], v179 offset0:52 offset1:136
	ds_read2_b64 v[40:43], v0 offset0:132 offset1:216
	;; [unrolled: 1-line block ×6, first 2 shown]
	ds_read_b64 v[74:75], v179 offset:8480
.LBB0_13:
	s_or_b32 exec_lo, exec_lo, s1
	v_and_b32_e32 v181, 3, v180
	v_mul_u32_u24_e32 v0, 12, v181
	v_lshlrev_b32_e32 v20, 3, v0
	s_clause 0x5
	global_load_dwordx4 v[12:15], v20, s[2:3] offset:16
	global_load_dwordx4 v[8:11], v20, s[2:3] offset:32
	;; [unrolled: 1-line block ×6, first 2 shown]
	s_waitcnt vmcnt(0) lgkmcnt(0)
	s_barrier
	buffer_gl0_inv
	v_mul_f32_e32 v103, v31, v13
	v_mul_f32_e32 v104, v30, v13
	;; [unrolled: 1-line block ×18, first 2 shown]
	v_fma_f32 v103, v30, v12, -v103
	v_fmac_f32_e32 v104, v31, v12
	v_fmac_f32_e32 v100, v73, v22
	v_mul_f32_e32 v107, v67, v9
	v_mul_f32_e32 v110, v60, v11
	;; [unrolled: 1-line block ×18, first 2 shown]
	v_fma_f32 v64, v64, v14, -v105
	v_fmac_f32_e32 v106, v65, v14
	v_fmac_f32_e32 v108, v67, v8
	;; [unrolled: 1-line block ×3, first 2 shown]
	v_fma_f32 v57, v58, v4, -v113
	v_fma_f32 v58, v52, v6, -v114
	v_fmac_f32_e32 v98, v49, v18
	v_fma_f32 v52, v50, v20, -v117
	v_fma_f32 v50, v72, v22, -v118
	;; [unrolled: 1-line block ×3, first 2 shown]
	v_fmac_f32_e32 v94, v47, v8
	v_fma_f32 v47, v40, v10, -v121
	v_fma_f32 v44, v34, v4, -v124
	v_fmac_f32_e32 v87, v35, v4
	v_fma_f32 v34, v36, v6, -v175
	v_add_f32_e32 v35, v28, v103
	v_add_f32_e32 v36, v29, v104
	v_sub_f32_e32 v40, v104, v100
	v_mul_f32_e32 v109, v61, v11
	v_mul_f32_e32 v97, v54, v17
	;; [unrolled: 1-line block ×9, first 2 shown]
	v_fma_f32 v65, v66, v8, -v107
	v_fmac_f32_e32 v110, v61, v10
	v_fma_f32 v125, v62, v0, -v111
	v_fmac_f32_e32 v102, v63, v0
	v_fmac_f32_e32 v101, v53, v6
	v_fma_f32 v53, v48, v18, -v116
	v_fmac_f32_e32 v90, v41, v10
	v_fmac_f32_e32 v91, v43, v0
	v_fmac_f32_e32 v92, v33, v2
	v_fmac_f32_e32 v86, v37, v6
	v_fma_f32 v33, v38, v16, -v176
	v_fmac_f32_e32 v85, v69, v18
	v_fmac_f32_e32 v82, v71, v20
	v_add_f32_e32 v38, v103, v50
	v_sub_f32_e32 v37, v103, v50
	v_add_f32_e32 v41, v64, v52
	v_sub_f32_e32 v43, v64, v52
	v_sub_f32_e32 v61, v108, v98
	v_add_f32_e32 v62, v35, v64
	v_add_f32_e32 v63, v36, v106
	v_mul_f32_e32 v64, 0xbeedf032, v40
	v_mul_f32_e32 v67, 0xbf52af12, v40
	;; [unrolled: 1-line block ×7, first 2 shown]
	v_fma_f32 v109, v60, v10, -v109
	v_fmac_f32_e32 v96, v59, v4
	v_fmac_f32_e32 v97, v55, v16
	;; [unrolled: 1-line block ×4, first 2 shown]
	v_fma_f32 v48, v46, v8, -v120
	v_fma_f32 v45, v32, v2, -v123
	v_fmac_f32_e32 v84, v39, v16
	v_fma_f32 v32, v68, v18, -v177
	v_fma_f32 v31, v70, v20, -v178
	;; [unrolled: 1-line block ×3, first 2 shown]
	v_fmac_f32_e32 v83, v75, v22
	v_add_f32_e32 v39, v104, v100
	v_add_f32_e32 v55, v65, v53
	;; [unrolled: 1-line block ×3, first 2 shown]
	v_sub_f32_e32 v60, v65, v53
	v_mul_f32_e32 v66, 0xbeedf032, v37
	v_mul_f32_e32 v68, 0xbf52af12, v37
	;; [unrolled: 1-line block ×12, first 2 shown]
	v_add_f32_e32 v119, v62, v65
	v_add_f32_e32 v120, v63, v108
	v_fma_f32 v61, 0x3f62ad3f, v38, -v64
	v_fmac_f32_e32 v64, 0x3f62ad3f, v38
	v_fma_f32 v65, 0x3f116cb1, v38, -v67
	v_fmac_f32_e32 v67, 0x3f116cb1, v38
	;; [unrolled: 2-line block ×6, first 2 shown]
	v_fma_f32 v46, v42, v0, -v122
	v_sub_f32_e32 v51, v106, v99
	v_fmamk_f32 v62, v39, 0x3f62ad3f, v66
	v_fma_f32 v63, 0x3f62ad3f, v39, -v66
	v_fmamk_f32 v66, v39, 0x3f116cb1, v68
	v_fma_f32 v68, 0x3f116cb1, v39, -v68
	;; [unrolled: 2-line block ×6, first 2 shown]
	v_add_f32_e32 v213, v28, v61
	v_add_f32_e32 v230, v28, v64
	;; [unrolled: 1-line block ×12, first 2 shown]
	v_mul_f32_e32 v28, 0xbf52af12, v60
	v_fma_f32 v56, v56, v2, -v112
	v_fma_f32 v54, v54, v16, -v115
	v_add_f32_e32 v42, v106, v99
	v_mul_f32_e32 v111, 0xbf52af12, v51
	v_mul_f32_e32 v103, 0xbf52af12, v43
	;; [unrolled: 1-line block ×12, first 2 shown]
	v_add_f32_e32 v214, v29, v62
	v_add_f32_e32 v231, v29, v63
	;; [unrolled: 1-line block ×12, first 2 shown]
	v_mul_f32_e32 v38, 0xbf29c268, v60
	v_fmamk_f32 v66, v59, 0x3f116cb1, v28
	v_fma_f32 v64, 0x3f116cb1, v59, -v28
	v_sub_f32_e32 v28, v110, v97
	v_mul_f32_e32 v51, 0xbf7e222b, v60
	v_mul_f32_e32 v115, 0xbe750f2a, v60
	;; [unrolled: 1-line block ×4, first 2 shown]
	v_fma_f32 v203, 0x3f116cb1, v41, -v111
	v_fmamk_f32 v204, v42, 0x3f116cb1, v103
	v_fmac_f32_e32 v111, 0x3f116cb1, v41
	v_fma_f32 v206, 0x3f116cb1, v42, -v103
	v_fma_f32 v207, 0xbeb58ec6, v41, -v112
	v_fmamk_f32 v212, v42, 0xbeb58ec6, v104
	v_fmac_f32_e32 v112, 0xbeb58ec6, v41
	v_fma_f32 v216, 0xbeb58ec6, v42, -v104
	;; [unrolled: 4-line block ×6, first 2 shown]
	v_fma_f32 v229, 0x3df6dbef, v55, -v215
	v_fmac_f32_e32 v215, 0x3df6dbef, v55
	v_fma_f32 v209, 0xbf788fa5, v55, -v178
	v_fmac_f32_e32 v178, 0xbf788fa5, v55
	;; [unrolled: 2-line block ×6, first 2 shown]
	v_fmamk_f32 v63, v59, 0xbf3f9e67, v38
	v_fma_f32 v61, 0xbf3f9e67, v59, -v38
	v_mul_f32_e32 v60, 0xbf6f5d39, v28
	v_mul_f32_e32 v55, 0x3f29c268, v28
	;; [unrolled: 1-line block ×6, first 2 shown]
	v_add_f32_e32 v28, v109, v54
	v_fmamk_f32 v250, v59, 0x3df6dbef, v51
	v_fma_f32 v251, 0x3df6dbef, v59, -v51
	v_fmamk_f32 v208, v59, 0xbf788fa5, v115
	v_fma_f32 v205, 0xbf788fa5, v59, -v115
	;; [unrolled: 2-line block ×4, first 2 shown]
	v_fma_f32 v69, 0xbeb58ec6, v28, -v60
	v_fmac_f32_e32 v60, 0xbeb58ec6, v28
	v_fma_f32 v68, 0xbf3f9e67, v28, -v55
	v_fmac_f32_e32 v55, 0xbf3f9e67, v28
	;; [unrolled: 2-line block ×6, first 2 shown]
	v_sub_f32_e32 v28, v109, v54
	v_add_f32_e32 v211, v119, v109
	v_add_f32_e32 v210, v120, v110
	;; [unrolled: 1-line block ×4, first 2 shown]
	v_mul_f32_e32 v70, 0xbf6f5d39, v28
	v_mul_f32_e32 v71, 0x3f29c268, v28
	;; [unrolled: 1-line block ×6, first 2 shown]
	v_add_f32_e32 v211, v211, v125
	v_add_f32_e32 v210, v210, v102
	v_fmamk_f32 v108, v116, 0xbeb58ec6, v70
	v_fma_f32 v107, 0xbeb58ec6, v116, -v70
	v_fmamk_f32 v106, v116, 0xbf3f9e67, v71
	v_fma_f32 v105, 0xbf3f9e67, v116, -v71
	;; [unrolled: 2-line block ×3, first 2 shown]
	v_add_f32_e32 v111, v111, v230
	v_add_f32_e32 v230, v206, v231
	v_add_f32_e32 v28, v207, v232
	v_add_f32_e32 v214, v212, v233
	v_add_f32_e32 v206, v218, v122
	v_add_f32_e32 v204, v113, v237
	v_add_f32_e32 v113, v114, v241
	v_add_f32_e32 v114, v222, v242
	v_add_f32_e32 v122, v228, v29
	v_mul_f32_e32 v29, v27, v13
	v_add_f32_e32 v211, v211, v56
	v_add_f32_e32 v210, v210, v95
	;; [unrolled: 1-line block ×4, first 2 shown]
	v_mul_f32_e32 v28, v26, v13
	v_fma_f32 v29, v26, v12, -v29
	v_add_f32_e32 v26, v208, v214
	v_sub_f32_e32 v208, v102, v101
	v_add_f32_e32 v37, v37, v113
	v_add_f32_e32 v67, v67, v114
	;; [unrolled: 1-line block ×8, first 2 shown]
	v_fmac_f32_e32 v28, v27, v12
	v_add_f32_e32 v27, v125, v58
	v_sub_f32_e32 v125, v125, v58
	v_add_f32_e32 v205, v205, v212
	v_mul_f32_e32 v212, 0xbf29c268, v208
	v_add_f32_e32 v41, v41, v37
	v_add_f32_e32 v37, v113, v58
	;; [unrolled: 1-line block ×7, first 2 shown]
	v_mul_f32_e32 v204, 0x3f7e222b, v125
	v_add_f32_e32 v200, v200, v203
	v_fma_f32 v203, 0xbf3f9e67, v27, -v212
	v_fmac_f32_e32 v212, 0xbf3f9e67, v27
	v_add_f32_e32 v36, v36, v117
	v_add_f32_e32 v60, v60, v111
	;; [unrolled: 1-line block ×4, first 2 shown]
	v_fmamk_f32 v104, v116, 0x3f62ad3f, v72
	v_fma_f32 v103, 0x3f62ad3f, v116, -v72
	v_fmamk_f32 v75, v116, 0x3df6dbef, v73
	v_fma_f32 v74, 0x3df6dbef, v116, -v73
	;; [unrolled: 2-line block ×3, first 2 shown]
	v_add_f32_e32 v207, v217, v236
	v_add_f32_e32 v176, v221, v240
	;; [unrolled: 1-line block ×7, first 2 shown]
	v_mul_f32_e32 v206, 0x3f7e222b, v208
	v_add_f32_e32 v40, v40, v119
	v_add_f32_e32 v63, v63, v120
	;; [unrolled: 1-line block ×7, first 2 shown]
	v_fmamk_f32 v60, v102, 0x3df6dbef, v204
	v_add_f32_e32 v177, v220, v239
	v_add_f32_e32 v201, v201, v207
	;; [unrolled: 1-line block ×3, first 2 shown]
	v_fma_f32 v176, 0x3df6dbef, v27, -v206
	v_add_f32_e32 v42, v42, v115
	v_add_f32_e32 v66, v66, v116
	v_add_f32_e32 v35, v35, v121
	v_add_f32_e32 v61, v61, v122
	v_add_f32_e32 v69, v69, v109
	v_add_f32_e32 v68, v68, v209
	v_add_f32_e32 v40, v51, v40
	v_add_f32_e32 v51, v71, v63
	v_mul_f32_e32 v63, 0xbf52af12, v208
	v_add_f32_e32 v60, v60, v26
	v_mul_f32_e32 v26, 0xbf52af12, v125
	v_add_f32_e32 v118, v225, v246
	v_add_f32_e32 v123, v123, v177
	;; [unrolled: 1-line block ×11, first 2 shown]
	v_fma_f32 v66, 0x3f116cb1, v27, -v63
	v_mul_f32_e32 v68, 0x3e750f2a, v208
	v_fmamk_f32 v69, v102, 0x3f116cb1, v26
	v_fma_f32 v26, 0x3f116cb1, v102, -v26
	v_add_f32_e32 v64, v64, v118
	v_add_f32_e32 v43, v43, v175
	;; [unrolled: 1-line block ×4, first 2 shown]
	v_fmac_f32_e32 v63, 0x3f116cb1, v27
	v_fma_f32 v66, 0xbf788fa5, v27, -v68
	v_mul_f32_e32 v70, 0x3e750f2a, v125
	v_add_f32_e32 v71, v26, v103
	v_mul_f32_e32 v26, 0x3eedf032, v208
	v_add_f32_e32 v67, v74, v67
	v_add_f32_e32 v58, v72, v64
	;; [unrolled: 1-line block ×4, first 2 shown]
	v_fmamk_f32 v43, v102, 0xbf788fa5, v70
	v_fmac_f32_e32 v68, 0xbf788fa5, v27
	v_mul_f32_e32 v66, 0x3eedf032, v125
	v_fma_f32 v70, 0xbf788fa5, v102, -v70
	v_fma_f32 v72, 0x3f62ad3f, v27, -v26
	v_add_f32_e32 v75, v75, v124
	v_add_f32_e32 v68, v68, v41
	v_fmamk_f32 v41, v102, 0x3f62ad3f, v66
	v_add_f32_e32 v67, v70, v67
	v_add_f32_e32 v70, v72, v42
	v_mul_f32_e32 v42, 0xbf6f5d39, v208
	v_add_f32_e32 v73, v43, v75
	v_fmac_f32_e32 v26, 0x3f62ad3f, v27
	v_add_f32_e32 v59, v41, v59
	v_mul_f32_e32 v41, 0xbf6f5d39, v125
	v_fma_f32 v43, 0x3f62ad3f, v102, -v66
	v_fma_f32 v66, 0xbeb58ec6, v27, -v42
	v_sub_f32_e32 v74, v95, v96
	v_add_f32_e32 v213, v112, v234
	v_add_f32_e32 v112, v251, v230
	v_mul_f32_e32 v207, 0xbf29c268, v125
	v_add_f32_e32 v72, v26, v39
	v_fmamk_f32 v26, v102, 0xbeb58ec6, v41
	v_add_f32_e32 v66, v66, v40
	v_add_f32_e32 v75, v56, v57
	v_mul_f32_e32 v40, 0xbe750f2a, v74
	v_sub_f32_e32 v56, v56, v57
	v_add_f32_e32 v110, v250, v110
	v_fmamk_f32 v177, v102, 0xbf3f9e67, v207
	v_fma_f32 v207, 0xbf3f9e67, v102, -v207
	v_add_f32_e32 v107, v107, v112
	v_fmac_f32_e32 v206, 0x3df6dbef, v27
	v_add_f32_e32 v51, v26, v51
	v_fmac_f32_e32 v42, 0xbeb58ec6, v27
	v_fma_f32 v26, 0xbeb58ec6, v102, -v41
	v_fma_f32 v27, 0xbf788fa5, v75, -v40
	v_add_f32_e32 v57, v95, v96
	v_mul_f32_e32 v39, 0xbe750f2a, v56
	v_add_f32_e32 v178, v178, v213
	v_add_f32_e32 v108, v108, v110
	;; [unrolled: 1-line block ×7, first 2 shown]
	v_mul_f32_e32 v42, 0x3eedf032, v74
	v_fma_f32 v27, 0xbf788fa5, v57, -v39
	v_mul_f32_e32 v41, 0x3eedf032, v56
	v_add_f32_e32 v55, v55, v178
	v_add_f32_e32 v53, v177, v108
	;; [unrolled: 1-line block ×3, first 2 shown]
	v_fmamk_f32 v26, v57, 0xbf788fa5, v39
	v_fmac_f32_e32 v40, 0xbf788fa5, v75
	v_fma_f32 v43, 0x3f62ad3f, v75, -v42
	v_add_f32_e32 v27, v27, v50
	v_fmamk_f32 v50, v57, 0x3f62ad3f, v41
	v_add_f32_e32 v104, v104, v202
	v_add_f32_e32 v55, v206, v55
	;; [unrolled: 1-line block ×5, first 2 shown]
	v_mul_f32_e32 v52, 0xbf29c268, v74
	v_fmac_f32_e32 v42, 0x3f62ad3f, v75
	v_fma_f32 v43, 0x3f62ad3f, v57, -v41
	v_add_f32_e32 v41, v50, v60
	v_mul_f32_e32 v50, 0xbf29c268, v56
	v_add_f32_e32 v69, v69, v104
	v_fma_f32 v53, 0xbf3f9e67, v75, -v52
	v_add_f32_e32 v42, v42, v55
	v_mul_f32_e32 v54, 0x3f52af12, v74
	v_fmamk_f32 v55, v57, 0xbf3f9e67, v50
	v_fmac_f32_e32 v52, 0xbf3f9e67, v75
	v_add_f32_e32 v108, v53, v65
	v_fma_f32 v50, 0xbf3f9e67, v57, -v50
	v_fma_f32 v53, 0x3f116cb1, v75, -v54
	v_add_f32_e32 v109, v55, v69
	v_mul_f32_e32 v55, 0x3f52af12, v56
	v_add_f32_e32 v175, v52, v63
	v_add_f32_e32 v176, v50, v71
	;; [unrolled: 1-line block ×3, first 2 shown]
	v_mul_f32_e32 v50, 0xbf6f5d39, v74
	v_fmamk_f32 v52, v57, 0x3f116cb1, v55
	v_fma_f32 v53, 0x3f116cb1, v57, -v55
	v_mul_f32_e32 v55, 0xbf6f5d39, v56
	v_fmac_f32_e32 v54, 0x3f116cb1, v75
	v_add_f32_e32 v105, v105, v205
	v_add_f32_e32 v113, v52, v73
	;; [unrolled: 1-line block ×3, first 2 shown]
	v_fmamk_f32 v52, v57, 0xbeb58ec6, v55
	v_mul_f32_e32 v53, 0x3f7e222b, v74
	v_fma_f32 v64, 0x3df6dbef, v102, -v204
	v_fma_f32 v60, 0xbeb58ec6, v75, -v50
	v_add_f32_e32 v210, v54, v68
	v_mul_f32_e32 v54, 0x3f7e222b, v56
	v_fmac_f32_e32 v50, 0xbeb58ec6, v75
	v_add_f32_e32 v205, v52, v59
	v_fma_f32 v52, 0xbeb58ec6, v57, -v55
	v_fma_f32 v55, 0x3df6dbef, v75, -v53
	v_fmac_f32_e32 v53, 0x3df6dbef, v75
	v_sub_f32_e32 v73, v28, v83
	v_sub_f32_e32 v212, v29, v30
	v_add_f32_e32 v64, v64, v105
	v_add_f32_e32 v214, v50, v72
	;; [unrolled: 1-line block ×3, first 2 shown]
	v_fma_f32 v35, 0x3df6dbef, v57, -v54
	v_add_f32_e32 v74, v29, v30
	v_mul_f32_e32 v72, 0xbeedf032, v73
	v_add_f32_e32 v105, v28, v83
	v_mul_f32_e32 v97, 0xbeedf032, v212
	v_fmamk_f32 v56, v57, 0x3df6dbef, v54
	v_add_f32_e32 v219, v35, v95
	v_mul_f32_e32 v107, 0xbf52af12, v73
	v_fmamk_f32 v35, v74, 0x3f62ad3f, v72
	v_mul_f32_e32 v111, 0xbf52af12, v212
	v_fma_f32 v50, 0x3f62ad3f, v105, -v97
	v_mul_f32_e32 v119, 0xbf7e222b, v73
	v_add_f32_e32 v217, v56, v51
	v_fmamk_f32 v51, v74, 0x3f116cb1, v107
	v_add_f32_e32 v53, v24, v35
	v_fma_f32 v35, 0x3f116cb1, v105, -v111
	v_add_f32_e32 v54, v25, v50
	v_fmamk_f32 v50, v74, 0x3df6dbef, v119
	v_mul_f32_e32 v123, 0xbf7e222b, v212
	v_mul_f32_e32 v202, 0xbf6f5d39, v73
	v_sub_f32_e32 v96, v93, v82
	v_add_f32_e32 v215, v52, v58
	v_add_f32_e32 v56, v24, v51
	;; [unrolled: 1-line block ×4, first 2 shown]
	v_fma_f32 v51, 0x3df6dbef, v105, -v123
	v_fmamk_f32 v52, v74, 0xbeb58ec6, v202
	v_add_f32_e32 v35, v49, v31
	v_mul_f32_e32 v50, 0xbf52af12, v96
	v_sub_f32_e32 v61, v49, v31
	v_add_f32_e32 v204, v60, v70
	v_add_f32_e32 v216, v55, v66
	v_mul_f32_e32 v208, 0xbf6f5d39, v212
	v_add_f32_e32 v60, v25, v51
	v_add_f32_e32 v62, v24, v52
	v_fmamk_f32 v63, v35, 0x3f116cb1, v50
	v_add_f32_e32 v51, v93, v82
	v_mul_f32_e32 v52, 0xbf52af12, v61
	v_mul_f32_e32 v55, 0xbf6f5d39, v96
	v_fma_f32 v58, 0xbeb58ec6, v105, -v208
	v_add_f32_e32 v65, v63, v53
	v_mul_f32_e32 v68, 0xbe750f2a, v96
	v_fma_f32 v53, 0x3f116cb1, v51, -v52
	v_fmamk_f32 v63, v35, 0xbeb58ec6, v55
	v_mul_f32_e32 v70, 0xbe750f2a, v61
	v_add_f32_e32 v43, v43, v64
	v_add_f32_e32 v64, v25, v58
	v_mul_f32_e32 v58, 0xbf6f5d39, v61
	v_add_f32_e32 v71, v53, v54
	v_add_f32_e32 v75, v63, v56
	v_fmamk_f32 v53, v35, 0xbf788fa5, v68
	v_fma_f32 v54, 0xbf788fa5, v51, -v70
	v_mul_f32_e32 v63, 0x3f29c268, v96
	v_sub_f32_e32 v103, v94, v85
	v_fma_f32 v66, 0xbeb58ec6, v51, -v58
	v_mul_f32_e32 v67, 0x3f29c268, v61
	v_add_f32_e32 v59, v53, v59
	v_add_f32_e32 v102, v54, v60
	v_fmamk_f32 v56, v35, 0xbf3f9e67, v63
	v_add_f32_e32 v53, v48, v32
	v_sub_f32_e32 v69, v48, v32
	v_mul_f32_e32 v54, 0xbf7e222b, v103
	v_add_f32_e32 v95, v66, v57
	v_fma_f32 v57, 0xbf3f9e67, v51, -v67
	v_add_f32_e32 v104, v56, v62
	v_add_f32_e32 v56, v94, v85
	v_fmamk_f32 v60, v53, 0x3df6dbef, v54
	v_mul_f32_e32 v66, 0xbe750f2a, v69
	v_add_f32_e32 v37, v37, v99
	v_add_f32_e32 v106, v57, v64
	v_mul_f32_e32 v57, 0xbf7e222b, v69
	v_mul_f32_e32 v62, 0xbe750f2a, v103
	v_add_f32_e32 v114, v60, v65
	v_fma_f32 v65, 0xbf788fa5, v56, -v66
	v_add_f32_e32 v37, v37, v100
	v_mul_f32_e32 v98, 0x3f6f5d39, v103
	v_fma_f32 v64, 0x3df6dbef, v56, -v57
	v_fmamk_f32 v60, v53, 0xbf788fa5, v62
	v_mul_f32_e32 v101, 0x3f6f5d39, v69
	v_add_f32_e32 v117, v65, v95
	v_mul_f32_e32 v95, 0x3eedf032, v103
	v_sub_f32_e32 v100, v47, v33
	v_fmamk_f32 v99, v53, 0xbeb58ec6, v98
	v_add_f32_e32 v115, v64, v71
	v_add_f32_e32 v116, v60, v75
	v_sub_f32_e32 v110, v90, v84
	v_fma_f32 v71, 0xbeb58ec6, v56, -v101
	v_fmamk_f32 v75, v53, 0x3f62ad3f, v95
	v_add_f32_e32 v64, v90, v84
	v_mul_f32_e32 v65, 0xbf6f5d39, v100
	v_add_f32_e32 v118, v99, v59
	v_add_f32_e32 v60, v47, v33
	v_mul_f32_e32 v59, 0xbf6f5d39, v110
	v_add_f32_e32 v122, v71, v102
	v_add_f32_e32 v125, v75, v104
	v_fma_f32 v102, 0xbeb58ec6, v64, -v65
	v_mul_f32_e32 v71, 0x3f29c268, v110
	v_lshrrev_b32_e32 v104, 2, v180
	v_mul_f32_e32 v99, 0x3eedf032, v69
	v_fmamk_f32 v121, v60, 0xbeb58ec6, v59
	v_add_f32_e32 v200, v102, v115
	v_fmamk_f32 v102, v60, 0xbf3f9e67, v71
	v_mul_u32_u24_e32 v104, 52, v104
	v_fma_f32 v120, 0x3f62ad3f, v56, -v99
	v_add_f32_e32 v114, v121, v114
	v_mul_f32_e32 v75, 0x3f29c268, v100
	v_mul_f32_e32 v121, 0x3eedf032, v110
	v_add_f32_e32 v116, v102, v116
	v_or_b32_e32 v102, v104, v181
	v_add_f32_e32 v178, v120, v106
	v_fma_f32 v106, 0xbf3f9e67, v64, -v75
	v_fmamk_f32 v115, v60, 0x3f62ad3f, v121
	v_sub_f32_e32 v209, v91, v86
	v_lshlrev_b32_e32 v201, 3, v102
	v_sub_f32_e32 v124, v46, v34
	v_mul_f32_e32 v177, 0x3eedf032, v100
	v_add_f32_e32 v206, v106, v117
	v_add_f32_e32 v213, v115, v118
	;; [unrolled: 1-line block ×3, first 2 shown]
	ds_write2_b64 v201, v[40:41], v[108:109] offset0:8 offset1:12
	v_add_f32_e32 v108, v91, v86
	v_mul_f32_e32 v106, 0xbf29c268, v124
	v_mul_f32_e32 v118, 0x3f7e222b, v124
	v_mul_f32_e32 v203, 0xbf52af12, v209
	v_fma_f32 v115, 0x3f62ad3f, v64, -v177
	v_mul_f32_e32 v117, 0xbf7e222b, v110
	v_fma_f32 v40, 0xbf3f9e67, v108, -v106
	ds_write2_b64 v201, v[112:113], v[204:205] offset0:16 offset1:20
	v_fma_f32 v109, 0x3df6dbef, v108, -v118
	v_fmamk_f32 v112, v104, 0x3f116cb1, v203
	v_mul_f32_e32 v207, 0xbf52af12, v124
	ds_write2_b64 v201, v[36:37], v[38:39] offset1:4
	v_fmamk_f32 v36, v60, 0x3df6dbef, v117
	v_mul_f32_e32 v102, 0xbf29c268, v209
	v_add_f32_e32 v38, v115, v122
	v_add_f32_e32 v40, v40, v200
	v_mul_f32_e32 v122, 0x3e750f2a, v209
	v_add_f32_e32 v200, v109, v206
	v_add_f32_e32 v204, v112, v213
	v_fma_f32 v109, 0x3f116cb1, v108, -v207
	v_sub_f32_e32 v213, v92, v87
	v_mul_f32_e32 v120, 0xbf7e222b, v100
	v_fmamk_f32 v39, v104, 0xbf3f9e67, v102
	v_add_f32_e32 v36, v36, v125
	v_mul_f32_e32 v115, 0x3f7e222b, v209
	v_fmamk_f32 v112, v104, 0xbf788fa5, v122
	v_add_f32_e32 v38, v109, v38
	v_sub_f32_e32 v205, v45, v44
	v_add_f32_e32 v113, v45, v44
	v_mul_f32_e32 v109, 0xbe750f2a, v213
	v_fma_f32 v37, 0x3df6dbef, v64, -v120
	v_add_f32_e32 v39, v39, v114
	v_fmamk_f32 v41, v104, 0x3df6dbef, v115
	v_add_f32_e32 v36, v112, v36
	v_add_f32_e32 v114, v92, v87
	ds_write2_b64 v201, v[214:215], v[210:211] offset0:32 offset1:36
	v_mul_f32_e32 v112, 0xbe750f2a, v205
	v_fmamk_f32 v211, v113, 0xbf788fa5, v109
	v_mul_f32_e32 v210, 0xbf29c268, v213
	v_add_f32_e32 v37, v37, v178
	v_add_f32_e32 v41, v41, v116
	v_mul_f32_e32 v178, 0x3e750f2a, v124
	v_mul_f32_e32 v116, 0x3eedf032, v213
	ds_write2_b64 v201, v[175:176], v[42:43] offset0:40 offset1:44
	v_fma_f32 v42, 0xbf788fa5, v114, -v112
	v_add_f32_e32 v175, v211, v39
	v_fmamk_f32 v39, v113, 0xbf3f9e67, v210
	v_mul_f32_e32 v211, 0xbf29c268, v205
	v_fma_f32 v206, 0xbf788fa5, v108, -v178
	v_mul_f32_e32 v125, 0x3eedf032, v205
	v_fmamk_f32 v43, v113, 0x3f62ad3f, v116
	v_add_f32_e32 v176, v42, v40
	v_add_f32_e32 v40, v39, v204
	v_fma_f32 v39, 0xbf3f9e67, v114, -v211
	v_mul_f32_e32 v204, 0x3f52af12, v213
	v_fma_f32 v214, 0x3f62ad3f, v114, -v125
	v_add_f32_e32 v42, v43, v41
	v_add_f32_e32 v37, v206, v37
	v_mul_f32_e32 v206, 0x3f52af12, v205
	v_add_f32_e32 v41, v39, v38
	v_fmamk_f32 v38, v113, 0x3f116cb1, v204
	v_mul_f32_e32 v224, 0xbf29c268, v73
	v_add_f32_e32 v43, v214, v200
	v_fma_f32 v39, 0x3f116cb1, v114, -v206
	v_mul_f32_e32 v214, 0x3f7e222b, v96
	v_add_f32_e32 v38, v38, v36
	v_fmamk_f32 v36, v74, 0xbf3f9e67, v224
	v_mul_f32_e32 v225, 0xbf29c268, v212
	v_add_f32_e32 v39, v39, v37
	v_fmamk_f32 v37, v35, 0x3df6dbef, v214
	ds_write2_b64 v201, v[216:217], v[218:219] offset0:24 offset1:28
	v_add_f32_e32 v36, v24, v36
	v_mul_f32_e32 v216, 0x3f7e222b, v61
	v_mul_f32_e32 v215, 0xbf52af12, v103
	;; [unrolled: 1-line block ×4, first 2 shown]
	v_add_f32_e32 v36, v37, v36
	v_fma_f32 v37, 0xbf3f9e67, v105, -v225
	v_fma_f32 v200, 0x3df6dbef, v51, -v216
	v_mul_f32_e32 v220, 0x3e750f2a, v100
	v_mul_f32_e32 v219, 0x3eedf032, v209
	;; [unrolled: 1-line block ×3, first 2 shown]
	v_add_f32_e32 v37, v25, v37
	v_mul_f32_e32 v221, 0xbf6f5d39, v213
	v_mul_f32_e32 v223, 0xbf6f5d39, v205
	ds_write_b64 v201, v[26:27] offset:384
	v_add_f32_e32 v37, v200, v37
	v_fmamk_f32 v200, v53, 0x3f116cb1, v215
	v_add_f32_e32 v36, v200, v36
	v_fma_f32 v200, 0x3f116cb1, v56, -v218
	v_add_f32_e32 v37, v200, v37
	v_fmamk_f32 v200, v60, 0xbf788fa5, v217
	v_add_f32_e32 v36, v200, v36
	v_fma_f32 v200, 0xbf788fa5, v64, -v220
	;; [unrolled: 4-line block ×4, first 2 shown]
	v_add_f32_e32 v37, v200, v37
	v_lshrrev_b32_e32 v200, 2, v81
	s_and_saveexec_b32 s1, s0
	s_cbranch_execz .LBB0_15
; %bb.14:
	v_mul_f32_e32 v26, 0xbf788fa5, v105
	v_mul_f32_e32 v81, 0xbf3f9e67, v105
	;; [unrolled: 1-line block ×5, first 2 shown]
	v_fmamk_f32 v27, v212, 0x3e750f2a, v26
	v_fmac_f32_e32 v26, 0xbe750f2a, v212
	v_mul_f32_e32 v212, 0xbf3f9e67, v74
	v_add_f32_e32 v81, v225, v81
	v_mul_f32_e32 v225, 0x3f62ad3f, v51
	v_add_f32_e32 v27, v25, v27
	v_mul_f32_e32 v96, 0x3eedf032, v96
	v_sub_f32_e32 v212, v212, v224
	v_mul_f32_e32 v224, 0xbeb58ec6, v105
	v_mul_f32_e32 v103, 0xbf29c268, v103
	;; [unrolled: 1-line block ×5, first 2 shown]
	v_add_f32_e32 v208, v208, v224
	v_mul_f32_e32 v224, 0xbeb58ec6, v74
	v_mul_f32_e32 v213, 0x3f7e222b, v213
	v_add_f32_e32 v208, v25, v208
	v_sub_f32_e32 v202, v224, v202
	v_mul_f32_e32 v224, 0x3df6dbef, v105
	v_add_f32_e32 v202, v24, v202
	v_add_f32_e32 v123, v123, v224
	v_mul_f32_e32 v224, 0x3df6dbef, v74
	v_add_f32_e32 v123, v25, v123
	v_sub_f32_e32 v119, v224, v119
	v_mul_f32_e32 v224, 0x3f116cb1, v105
	v_mul_f32_e32 v105, 0x3f62ad3f, v105
	v_add_f32_e32 v119, v24, v119
	v_add_f32_e32 v111, v111, v224
	v_mul_f32_e32 v224, 0x3f116cb1, v74
	v_add_f32_e32 v97, v97, v105
	v_fmamk_f32 v105, v74, 0xbf788fa5, v73
	v_fma_f32 v73, 0xbf788fa5, v74, -v73
	v_mul_f32_e32 v74, 0x3f62ad3f, v74
	v_sub_f32_e32 v107, v224, v107
	v_add_f32_e32 v224, v24, v29
	v_add_f32_e32 v111, v25, v111
	;; [unrolled: 1-line block ×3, first 2 shown]
	v_sub_f32_e32 v72, v74, v72
	v_add_f32_e32 v74, v24, v105
	v_add_f32_e32 v105, v25, v26
	;; [unrolled: 1-line block ×6, first 2 shown]
	v_fmamk_f32 v24, v61, 0xbeedf032, v225
	v_add_f32_e32 v212, v25, v28
	v_add_f32_e32 v97, v25, v97
	v_fmamk_f32 v25, v69, 0x3f29c268, v226
	v_mul_f32_e32 v28, 0x3df6dbef, v35
	v_add_f32_e32 v24, v24, v27
	v_mul_f32_e32 v29, 0x3f116cb1, v53
	v_fmac_f32_e32 v226, 0xbf29c268, v69
	v_mul_f32_e32 v69, 0x3f62ad3f, v56
	v_sub_f32_e32 v28, v28, v214
	v_add_f32_e32 v24, v25, v24
	v_fmamk_f32 v25, v100, 0xbf52af12, v227
	v_sub_f32_e32 v29, v29, v215
	v_add_f32_e32 v69, v99, v69
	v_add_f32_e32 v28, v28, v81
	;; [unrolled: 1-line block ×4, first 2 shown]
	v_fmamk_f32 v25, v35, 0x3f62ad3f, v96
	v_fmac_f32_e32 v225, 0x3eedf032, v61
	v_add_f32_e32 v28, v29, v28
	v_mul_f32_e32 v29, 0xbf788fa5, v60
	v_add_f32_e32 v48, v49, v48
	v_add_f32_e32 v25, v25, v74
	v_mul_f32_e32 v74, 0xbeb58ec6, v108
	v_mul_f32_e32 v49, 0x3f116cb1, v51
	v_sub_f32_e32 v29, v29, v217
	v_add_f32_e32 v47, v48, v47
	v_add_f32_e32 v61, v225, v105
	v_fmamk_f32 v27, v124, 0x3f6f5d39, v74
	v_add_f32_e32 v49, v52, v49
	v_fmac_f32_e32 v227, 0x3f52af12, v100
	v_add_f32_e32 v46, v47, v46
	v_add_f32_e32 v61, v226, v61
	;; [unrolled: 1-line block ×3, first 2 shown]
	v_fmamk_f32 v27, v53, 0xbf3f9e67, v103
	v_add_f32_e32 v48, v49, v97
	v_mul_f32_e32 v49, 0x3df6dbef, v56
	v_add_f32_e32 v45, v46, v45
	v_mul_f32_e32 v46, 0xbeb58ec6, v64
	v_add_f32_e32 v25, v27, v25
	v_fmamk_f32 v27, v60, 0x3f116cb1, v110
	v_add_f32_e32 v49, v57, v49
	v_add_f32_e32 v44, v45, v44
	v_mul_f32_e32 v45, 0xbeb58ec6, v60
	v_add_f32_e32 v46, v65, v46
	v_add_f32_e32 v25, v27, v25
	v_fmamk_f32 v27, v104, 0xbeb58ec6, v209
	v_add_f32_e32 v47, v49, v48
	v_mul_f32_e32 v49, 0x3df6dbef, v53
	v_add_f32_e32 v44, v44, v34
	v_mul_f32_e32 v57, 0xbf788fa5, v114
	v_add_f32_e32 v27, v27, v25
	v_fmamk_f32 v25, v205, 0xbf7e222b, v228
	v_sub_f32_e32 v49, v49, v54
	v_add_f32_e32 v33, v44, v33
	v_add_f32_e32 v46, v46, v47
	v_mul_f32_e32 v54, 0xbf788fa5, v113
	v_add_f32_e32 v25, v25, v24
	v_fmamk_f32 v24, v113, 0x3df6dbef, v213
	v_add_f32_e32 v32, v33, v32
	v_mul_u32_u24_e32 v33, 52, v200
	v_add_f32_e32 v61, v227, v61
	v_fmac_f32_e32 v74, 0xbf6f5d39, v124
	v_add_f32_e32 v24, v24, v27
	v_mul_f32_e32 v27, 0x3df6dbef, v51
	v_or_b32_e32 v33, v33, v181
	v_fmac_f32_e32 v228, 0x3f7e222b, v205
	v_add_f32_e32 v61, v74, v61
	v_add_f32_e32 v27, v216, v27
	;; [unrolled: 1-line block ×4, first 2 shown]
	v_mul_f32_e32 v27, 0x3f116cb1, v56
	v_add_f32_e32 v27, v218, v27
	v_add_f32_e32 v26, v27, v26
	v_mul_f32_e32 v27, 0xbf788fa5, v64
	v_add_f32_e32 v27, v220, v27
	v_add_f32_e32 v26, v27, v26
	;; [unrolled: 3-line block ×3, first 2 shown]
	v_add_f32_e32 v27, v29, v28
	v_mul_f32_e32 v28, 0x3f62ad3f, v104
	v_mul_f32_e32 v29, 0xbeb58ec6, v114
	v_sub_f32_e32 v28, v28, v219
	v_add_f32_e32 v29, v223, v29
	v_add_f32_e32 v28, v28, v27
	v_mul_f32_e32 v27, 0xbeb58ec6, v113
	v_sub_f32_e32 v81, v27, v221
	v_add_f32_e32 v27, v29, v26
	v_mul_f32_e32 v29, 0xbeb58ec6, v56
	v_add_f32_e32 v26, v81, v28
	v_mul_f32_e32 v28, 0xbf788fa5, v51
	v_add_f32_e32 v29, v101, v29
	v_add_f32_e32 v28, v70, v28
	v_mul_f32_e32 v70, 0xbf788fa5, v35
	v_add_f32_e32 v28, v28, v123
	v_sub_f32_e32 v68, v70, v68
	v_mul_f32_e32 v70, 0xbeb58ec6, v53
	v_add_f32_e32 v28, v29, v28
	v_mul_f32_e32 v29, 0x3f62ad3f, v64
	v_add_f32_e32 v68, v68, v119
	v_sub_f32_e32 v70, v70, v98
	v_add_f32_e32 v29, v177, v29
	v_add_f32_e32 v68, v70, v68
	v_mul_f32_e32 v70, 0x3f62ad3f, v60
	v_add_f32_e32 v28, v29, v28
	v_mul_f32_e32 v29, 0x3f116cb1, v108
	v_sub_f32_e32 v70, v70, v121
	v_add_f32_e32 v29, v207, v29
	v_add_f32_e32 v28, v29, v28
	;; [unrolled: 1-line block ×3, first 2 shown]
	v_mul_f32_e32 v68, 0x3f116cb1, v104
	v_mul_f32_e32 v70, 0xbf3f9e67, v114
	v_sub_f32_e32 v68, v68, v203
	v_add_f32_e32 v70, v211, v70
	v_add_f32_e32 v68, v68, v29
	v_mul_f32_e32 v29, 0xbf3f9e67, v113
	v_sub_f32_e32 v81, v29, v210
	v_add_f32_e32 v29, v70, v28
	v_fma_f32 v70, 0xbf3f9e67, v53, -v103
	v_add_f32_e32 v28, v81, v68
	v_mul_f32_e32 v68, 0xbf3f9e67, v51
	v_add_f32_e32 v67, v67, v68
	v_fma_f32 v68, 0x3f62ad3f, v35, -v96
	v_add_f32_e32 v67, v67, v208
	v_add_f32_e32 v68, v68, v73
	v_mul_f32_e32 v73, 0xbeb58ec6, v51
	v_mul_f32_e32 v51, 0x3f62ad3f, v114
	v_add_f32_e32 v67, v69, v67
	v_mul_f32_e32 v69, 0x3df6dbef, v64
	v_add_f32_e32 v68, v70, v68
	;; [unrolled: 2-line block ×3, first 2 shown]
	v_add_f32_e32 v51, v125, v51
	v_add_f32_e32 v69, v120, v69
	v_fma_f32 v73, 0xbeb58ec6, v104, -v209
	v_sub_f32_e32 v63, v70, v63
	v_fma_f32 v70, 0x3f116cb1, v60, -v110
	v_add_f32_e32 v58, v58, v111
	v_add_f32_e32 v67, v69, v67
	v_mul_f32_e32 v69, 0x3f62ad3f, v53
	v_add_f32_e32 v63, v63, v202
	v_add_f32_e32 v68, v70, v68
	v_mul_f32_e32 v70, 0xbf788fa5, v108
	v_sub_f32_e32 v69, v69, v95
	v_add_f32_e32 v68, v73, v68
	v_add_f32_e32 v70, v178, v70
	;; [unrolled: 1-line block ×3, first 2 shown]
	v_mul_f32_e32 v69, 0x3df6dbef, v60
	v_add_f32_e32 v67, v70, v67
	v_mul_f32_e32 v70, 0xbeb58ec6, v35
	v_mul_f32_e32 v35, 0x3f116cb1, v35
	v_sub_f32_e32 v69, v69, v117
	v_sub_f32_e32 v55, v70, v55
	;; [unrolled: 1-line block ×3, first 2 shown]
	v_add_f32_e32 v63, v69, v63
	v_mul_f32_e32 v69, 0xbf788fa5, v56
	v_mul_f32_e32 v50, 0xbf3f9e67, v108
	v_add_f32_e32 v55, v55, v107
	v_add_f32_e32 v35, v35, v72
	v_mul_f32_e32 v56, 0x3f62ad3f, v113
	v_add_f32_e32 v66, v66, v69
	v_mul_f32_e32 v69, 0xbf788fa5, v104
	v_add_f32_e32 v50, v106, v50
	v_add_f32_e32 v35, v49, v35
	v_mul_f32_e32 v49, 0xbf3f9e67, v104
	v_add_f32_e32 v58, v66, v58
	v_mul_f32_e32 v66, 0xbf3f9e67, v64
	v_sub_f32_e32 v69, v69, v122
	v_mul_f32_e32 v70, 0x3f116cb1, v114
	v_sub_f32_e32 v44, v49, v102
	v_add_f32_e32 v46, v50, v46
	v_add_f32_e32 v66, v75, v66
	;; [unrolled: 1-line block ×3, first 2 shown]
	v_mul_f32_e32 v69, 0x3f116cb1, v113
	v_add_f32_e32 v49, v112, v57
	v_add_f32_e32 v50, v32, v31
	;; [unrolled: 1-line block ×3, first 2 shown]
	v_mul_f32_e32 v66, 0xbf788fa5, v53
	v_sub_f32_e32 v53, v45, v59
	v_add_f32_e32 v70, v206, v70
	v_sub_f32_e32 v69, v69, v204
	v_add_f32_e32 v32, v49, v46
	v_sub_f32_e32 v62, v66, v62
	v_mul_f32_e32 v66, 0x3df6dbef, v108
	v_add_f32_e32 v35, v53, v35
	v_add_f32_e32 v45, v70, v67
	;; [unrolled: 1-line block ×3, first 2 shown]
	v_mul_f32_e32 v62, 0xbf3f9e67, v60
	v_add_f32_e32 v66, v118, v66
	v_add_f32_e32 v35, v44, v35
	v_sub_f32_e32 v44, v54, v109
	v_sub_f32_e32 v62, v62, v71
	v_add_f32_e32 v58, v66, v58
	v_add_f32_e32 v66, v212, v93
	;; [unrolled: 1-line block ×5, first 2 shown]
	v_mul_f32_e32 v62, 0x3df6dbef, v104
	v_add_f32_e32 v66, v66, v94
	v_add_f32_e32 v47, v51, v58
	v_sub_f32_e32 v51, v56, v116
	v_sub_f32_e32 v62, v62, v115
	v_add_f32_e32 v52, v62, v55
	v_add_f32_e32 v55, v66, v90
	;; [unrolled: 1-line block ×5, first 2 shown]
	v_fma_f32 v55, 0x3df6dbef, v113, -v213
	v_add_f32_e32 v48, v48, v87
	v_add_f32_e32 v48, v48, v86
	;; [unrolled: 1-line block ×7, first 2 shown]
	v_lshlrev_b32_e32 v30, 3, v33
	v_add_f32_e32 v33, v55, v68
	ds_write2_b64 v30, v[48:49], v[31:32] offset1:4
	ds_write2_b64 v30, v[46:47], v[28:29] offset0:8 offset1:12
	ds_write2_b64 v30, v[44:45], v[26:27] offset0:16 offset1:20
	;; [unrolled: 1-line block ×5, first 2 shown]
	ds_write_b64 v30, v[175:176] offset:384
.LBB0_15:
	s_or_b32 exec_lo, exec_lo, s1
	v_mad_u64_u32 v[24:25], null, v180, 48, s[2:3]
	s_waitcnt lgkmcnt(0)
	s_barrier
	buffer_gl0_inv
	v_and_b32_e32 v44, 0xff, v80
	v_add_nc_u32_e32 v94, 0x800, v179
	v_add_nc_u32_e32 v90, 0x1000, v179
	s_clause 0x2
	global_load_dwordx4 v[32:35], v[24:25], off offset:400
	global_load_dwordx4 v[28:31], v[24:25], off offset:416
	;; [unrolled: 1-line block ×3, first 2 shown]
	ds_read2_b64 v[57:60], v179 offset0:104 offset1:156
	v_mul_lo_u16 v44, 0x4f, v44
	v_add_nc_u32_e32 v95, 0x1800, v179
	v_add_nc_u32_e32 v91, 0x1400, v179
	;; [unrolled: 1-line block ×3, first 2 shown]
	v_lshrrev_b16 v44, 12, v44
	v_mul_lo_u16 v44, v44, 52
	v_sub_nc_u16 v44, v80, v44
	v_and_b32_e32 v56, 0xff, v44
	v_mad_u64_u32 v[71:72], null, v56, 48, s[2:3]
	global_load_dwordx4 v[44:47], v[71:72], off offset:400
	ds_read2_b64 v[48:51], v94 offset0:56 offset1:108
	ds_read2_b64 v[52:55], v90 offset0:112 offset1:164
	;; [unrolled: 1-line block ×4, first 2 shown]
	s_waitcnt vmcnt(3) lgkmcnt(3)
	v_mul_f32_e32 v73, v48, v35
	v_mul_f32_e32 v69, v60, v33
	;; [unrolled: 1-line block ×3, first 2 shown]
	s_waitcnt vmcnt(1) lgkmcnt(1)
	v_mul_f32_e32 v84, v61, v27
	v_mul_f32_e32 v87, v59, v33
	v_fmac_f32_e32 v73, v49, v34
	v_mul_f32_e32 v49, v62, v27
	v_fma_f32 v98, v59, v32, -v69
	v_fmac_f32_e32 v84, v62, v26
	v_fmac_f32_e32 v87, v60, v32
	v_fma_f32 v82, v48, v34, -v70
	v_fma_f32 v93, v61, v26, -v49
	ds_read2_b64 v[59:62], v91 offset0:88 offset1:140
	v_mul_f32_e32 v48, v55, v31
	v_mul_f32_e32 v74, v51, v35
	v_mul_f32_e32 v75, v50, v35
	v_mul_f32_e32 v86, v63, v27
	s_waitcnt lgkmcnt(1)
	v_mul_f32_e32 v97, v67, v29
	v_fma_f32 v85, v54, v30, -v48
	v_mul_f32_e32 v48, v64, v27
	v_fma_f32 v74, v50, v34, -v74
	v_mul_f32_e32 v50, v68, v29
	v_fmac_f32_e32 v75, v51, v34
	v_fmac_f32_e32 v86, v64, v26
	v_fma_f32 v96, v63, v26, -v48
	v_fmac_f32_e32 v97, v68, v28
	v_fma_f32 v99, v67, v28, -v50
	ds_read2_b64 v[67:70], v95 offset0:64 offset1:116
	v_mul_f32_e32 v80, v53, v31
	v_mul_f32_e32 v81, v52, v31
	v_add_f32_e32 v108, v98, v93
	v_add_f32_e32 v112, v87, v84
	s_waitcnt lgkmcnt(1)
	v_mul_f32_e32 v48, v62, v25
	v_mul_f32_e32 v101, v61, v25
	v_fma_f32 v80, v52, v30, -v80
	v_fmac_f32_e32 v81, v53, v30
	v_mul_f32_e32 v83, v54, v31
	v_fma_f32 v100, v61, v24, -v48
	ds_read2_b64 v[48:51], v92 offset0:80 offset1:132
	v_fmac_f32_e32 v101, v62, v24
	ds_read2_b64 v[61:64], v90 offset0:8 offset1:60
	v_add_f32_e32 v110, v99, v80
	v_add_f32_e32 v109, v82, v100
	;; [unrolled: 1-line block ×4, first 2 shown]
	v_fmac_f32_e32 v83, v55, v30
	v_sub_f32_e32 v82, v82, v100
	s_waitcnt lgkmcnt(2)
	v_mul_f32_e32 v107, v67, v25
	v_sub_f32_e32 v73, v73, v101
	v_sub_f32_e32 v84, v87, v84
	v_fmac_f32_e32 v107, v68, v24
	v_add_f32_e32 v121, v75, v107
	s_waitcnt lgkmcnt(1)
	v_mul_f32_e32 v52, v49, v33
	v_mul_f32_e32 v103, v48, v33
	s_waitcnt lgkmcnt(0)
	v_mul_f32_e32 v105, v61, v29
	s_waitcnt vmcnt(0)
	v_mul_f32_e32 v125, v50, v45
	v_fma_f32 v102, v48, v32, -v52
	v_mul_f32_e32 v48, v62, v29
	v_fmac_f32_e32 v103, v49, v32
	v_fmac_f32_e32 v105, v62, v28
	ds_read2_b64 v[52:55], v179 offset1:52
	v_add_f32_e32 v116, v102, v96
	v_fma_f32 v104, v61, v28, -v48
	v_mul_f32_e32 v48, v68, v25
	v_add_f32_e32 v120, v103, v86
	v_add_f32_e32 v122, v105, v83
	v_fmac_f32_e32 v125, v51, v44
	v_add_f32_e32 v118, v104, v85
	v_fma_f32 v106, v67, v24, -v48
	v_add_f32_e32 v48, v109, v108
	v_add_f32_e32 v117, v74, v106
	v_add_f32_e32 v111, v110, v48
	v_add_f32_e32 v48, v113, v112
	v_add_f32_e32 v115, v114, v48
	v_add_f32_e32 v48, v117, v116
	s_waitcnt lgkmcnt(0)
	v_add_f32_e32 v61, v52, v111
	v_add_f32_e32 v62, v53, v115
	;; [unrolled: 1-line block ×4, first 2 shown]
	v_fmamk_f32 v111, v111, 0xbf955555, v61
	v_add_f32_e32 v67, v54, v119
	v_add_f32_e32 v123, v122, v48
	v_mul_f32_e32 v48, v51, v45
	v_add_f32_e32 v68, v55, v123
	v_fma_f32 v124, v50, v44, -v48
	v_mul_f32_e32 v48, v66, v47
	v_fma_f32 v177, v65, v46, -v48
	s_clause 0x1
	global_load_dwordx4 v[48:51], v[71:72], off offset:416
	global_load_dwordx4 v[52:55], v[71:72], off offset:432
	v_mul_f32_e32 v65, v65, v47
	v_fmac_f32_e32 v65, v66, v46
	s_waitcnt vmcnt(1)
	v_mul_f32_e32 v66, v64, v49
	v_mul_f32_e32 v71, v63, v49
	;; [unrolled: 1-line block ×3, first 2 shown]
	v_fma_f32 v66, v63, v48, -v66
	v_mul_f32_e32 v63, v60, v51
	v_fmac_f32_e32 v178, v60, v50
	v_sub_f32_e32 v60, v81, v97
	v_fmac_f32_e32 v71, v64, v48
	v_sub_f32_e32 v64, v112, v114
	v_fma_f32 v72, v59, v50, -v63
	s_waitcnt vmcnt(0)
	v_mul_f32_e32 v59, v70, v53
	v_sub_f32_e32 v63, v108, v110
	v_sub_f32_e32 v81, v114, v113
	v_fmamk_f32 v114, v115, 0xbf955555, v62
	v_fma_f32 v202, v69, v52, -v59
	v_mul_f32_e32 v69, v69, v53
	v_sub_f32_e32 v59, v80, v99
	v_sub_f32_e32 v80, v110, v109
	v_mul_f32_e32 v101, 0x3f4a47b2, v63
	v_sub_f32_e32 v99, v84, v60
	v_fmac_f32_e32 v69, v70, v52
	v_sub_f32_e32 v70, v98, v93
	v_add_f32_e32 v87, v59, v82
	v_sub_f32_e32 v93, v59, v82
	v_sub_f32_e32 v98, v60, v73
	v_mul_f32_e32 v110, 0x3f4a47b2, v64
	v_sub_f32_e32 v97, v70, v59
	v_add_f32_e32 v59, v60, v73
	v_mul_f32_e32 v93, 0xbf08b237, v93
	v_mul_f32_e32 v98, 0xbf08b237, v98
	v_add_f32_e32 v87, v87, v70
	ds_read_b64 v[63:64], v179 offset:8320
	v_add_f32_e32 v100, v59, v84
	v_fmamk_f32 v59, v80, 0x3d64c772, v101
	v_fmamk_f32 v115, v97, 0x3eae86e6, v93
	;; [unrolled: 1-line block ×3, first 2 shown]
	s_waitcnt lgkmcnt(0)
	s_barrier
	v_add_f32_e32 v204, v59, v111
	v_fmamk_f32 v59, v81, 0x3d64c772, v110
	v_fmac_f32_e32 v115, 0x3ee1c552, v87
	v_fmac_f32_e32 v203, 0x3ee1c552, v100
	buffer_gl0_inv
	v_add_f32_e32 v205, v59, v114
	v_add_f32_e32 v59, v203, v204
	v_sub_f32_e32 v60, v205, v115
	ds_write2_b64 v179, v[61:62], v[59:60] offset1:52
	v_sub_f32_e32 v61, v82, v70
	v_sub_f32_e32 v62, v73, v84
	v_mul_f32_e32 v70, 0x3d64c772, v80
	v_sub_f32_e32 v59, v109, v108
	v_sub_f32_e32 v60, v113, v112
	v_fma_f32 v73, 0x3f5ff5aa, v61, -v93
	v_mul_f32_e32 v61, 0x3f5ff5aa, v61
	v_fma_f32 v82, 0x3f5ff5aa, v62, -v98
	v_fma_f32 v70, 0x3f3bfb3b, v59, -v70
	;; [unrolled: 1-line block ×3, first 2 shown]
	v_fmac_f32_e32 v73, 0x3ee1c552, v87
	v_fma_f32 v80, 0xbeae86e6, v97, -v61
	v_mul_f32_e32 v61, 0x3f5ff5aa, v62
	v_fmac_f32_e32 v82, 0x3ee1c552, v100
	v_add_f32_e32 v70, v70, v111
	v_fmac_f32_e32 v80, 0x3ee1c552, v87
	v_fma_f32 v84, 0xbeae86e6, v99, -v61
	v_mul_f32_e32 v61, 0x3d64c772, v81
	v_add_f32_e32 v81, v59, v111
	v_fmac_f32_e32 v84, 0x3ee1c552, v100
	v_fma_f32 v61, 0x3f3bfb3b, v60, -v61
	v_fma_f32 v60, 0xbf3bfb3b, v60, -v110
	v_add_f32_e32 v59, v84, v81
	v_add_f32_e32 v93, v61, v114
	;; [unrolled: 1-line block ×3, first 2 shown]
	v_sub_f32_e32 v61, v70, v82
	v_add_f32_e32 v62, v73, v93
	v_sub_f32_e32 v60, v87, v80
	ds_write2_b64 v179, v[59:60], v[61:62] offset0:104 offset1:156
	v_add_f32_e32 v59, v82, v70
	v_sub_f32_e32 v60, v93, v73
	v_sub_f32_e32 v61, v81, v84
	v_add_f32_e32 v62, v80, v87
	v_sub_f32_e32 v70, v85, v104
	v_sub_f32_e32 v73, v83, v105
	;; [unrolled: 1-line block ×4, first 2 shown]
	ds_write2_b64 v92, v[59:60], v[61:62] offset0:80 offset1:132
	v_sub_f32_e32 v59, v204, v203
	v_add_f32_e32 v60, v115, v205
	v_sub_f32_e32 v61, v74, v106
	v_sub_f32_e32 v62, v75, v107
	v_sub_f32_e32 v75, v116, v118
	v_sub_f32_e32 v74, v117, v116
	ds_write2_b64 v94, v[59:60], v[67:68] offset0:56 offset1:108
	v_sub_f32_e32 v59, v102, v96
	v_add_f32_e32 v84, v70, v61
	v_sub_f32_e32 v60, v103, v86
	v_sub_f32_e32 v85, v70, v61
	;; [unrolled: 1-line block ×5, first 2 shown]
	v_add_f32_e32 v84, v84, v59
	v_add_f32_e32 v59, v73, v62
	v_sub_f32_e32 v61, v73, v62
	v_sub_f32_e32 v73, v60, v73
	v_sub_f32_e32 v87, v62, v60
	v_sub_f32_e32 v83, v122, v121
	v_add_f32_e32 v93, v59, v60
	v_mul_f32_e32 v60, 0x3f4a47b2, v82
	v_mul_f32_e32 v82, 0xbf08b237, v61
	;; [unrolled: 1-line block ×5, first 2 shown]
	v_fmamk_f32 v67, v119, 0xbf955555, v67
	v_fmamk_f32 v68, v123, 0xbf955555, v68
	v_fma_f32 v85, 0xbeae86e6, v70, -v61
	v_mul_f32_e32 v61, 0x3f5ff5aa, v87
	v_fmamk_f32 v70, v70, 0x3eae86e6, v75
	v_fmamk_f32 v62, v83, 0x3d64c772, v60
	v_fma_f32 v60, 0xbf3bfb3b, v81, -v60
	v_fmac_f32_e32 v85, 0x3ee1c552, v84
	v_fma_f32 v96, 0xbeae86e6, v73, -v61
	v_fmamk_f32 v73, v73, 0x3eae86e6, v82
	v_fmamk_f32 v61, v80, 0x3d64c772, v59
	v_fma_f32 v59, 0xbf3bfb3b, v74, -v59
	v_fmac_f32_e32 v70, 0x3ee1c552, v84
	v_fmac_f32_e32 v96, 0x3ee1c552, v93
	;; [unrolled: 1-line block ×3, first 2 shown]
	v_add_f32_e32 v97, v61, v67
	v_add_f32_e32 v98, v62, v68
	;; [unrolled: 1-line block ×4, first 2 shown]
	v_lshlrev_b32_e32 v203, 3, v76
	v_add_f32_e32 v59, v73, v97
	v_sub_f32_e32 v60, v98, v70
	v_add_f32_e32 v61, v96, v99
	v_sub_f32_e32 v62, v100, v85
	ds_write2_b64 v94, v[59:60], v[61:62] offset0:160 offset1:212
	v_mul_f32_e32 v59, 0x3d64c772, v80
	v_mul_f32_e32 v60, 0x3d64c772, v83
	v_fma_f32 v62, 0x3f5ff5aa, v86, -v75
	v_fma_f32 v61, 0x3f5ff5aa, v87, -v82
	;; [unrolled: 1-line block ×4, first 2 shown]
	v_fmac_f32_e32 v62, 0x3ee1c552, v84
	v_fmac_f32_e32 v61, 0x3ee1c552, v93
	v_add_f32_e32 v74, v71, v178
	v_add_f32_e32 v67, v59, v67
	;; [unrolled: 1-line block ×3, first 2 shown]
	v_sub_f32_e32 v59, v67, v61
	v_add_f32_e32 v60, v62, v68
	v_add_f32_e32 v61, v61, v67
	v_sub_f32_e32 v62, v68, v62
	v_add_f32_e32 v67, v66, v72
	v_sub_f32_e32 v66, v72, v66
	ds_write2_b64 v90, v[59:60], v[61:62] offset0:8 offset1:60
	v_sub_f32_e32 v59, v99, v96
	v_add_f32_e32 v60, v85, v100
	v_sub_f32_e32 v61, v97, v73
	v_add_f32_e32 v62, v70, v98
	v_add_f32_e32 v73, v65, v69
	v_sub_f32_e32 v65, v65, v69
	v_sub_f32_e32 v69, v178, v71
	ds_write2_b64 v90, v[59:60], v[61:62] offset0:112 offset1:164
	v_mul_f32_e32 v59, v64, v55
	v_mul_f32_e32 v61, v63, v55
	v_sub_f32_e32 v80, v69, v65
	v_fma_f32 v62, v63, v54, -v59
	v_fmac_f32_e32 v61, v64, v54
	v_add_f32_e32 v64, v177, v202
	v_add_f32_e32 v63, v124, v62
	;; [unrolled: 1-line block ×3, first 2 shown]
	v_sub_f32_e32 v62, v124, v62
	v_sub_f32_e32 v61, v125, v61
	v_add_f32_e32 v59, v64, v63
	v_sub_f32_e32 v71, v63, v67
	v_sub_f32_e32 v63, v64, v63
	;; [unrolled: 1-line block ×3, first 2 shown]
	v_add_f32_e32 v68, v67, v59
	v_add_f32_e32 v59, v73, v70
	v_sub_f32_e32 v67, v67, v64
	v_sub_f32_e32 v70, v73, v70
	v_add_f32_e32 v57, v57, v68
	v_add_f32_e32 v75, v74, v59
	v_add_co_u32 v59, s1, s2, v79
	v_sub_f32_e32 v79, v177, v202
	v_sub_f32_e32 v74, v74, v73
	v_add_f32_e32 v58, v58, v75
	v_add_co_ci_u32_e64 v60, null, s3, 0, s1
	v_add_f32_e32 v64, v66, v79
	v_sub_f32_e32 v73, v66, v79
	v_sub_f32_e32 v66, v62, v66
	;; [unrolled: 1-line block ×3, first 2 shown]
	v_lshlrev_b32_e32 v202, 3, v56
	v_add_f32_e32 v62, v64, v62
	v_add_f32_e32 v64, v69, v65
	v_sub_f32_e32 v69, v61, v69
	v_sub_f32_e32 v65, v65, v61
	v_fmamk_f32 v56, v68, 0xbf955555, v57
	v_add_co_u32 v59, s1, 0x800, v59
	v_add_f32_e32 v61, v64, v61
	v_mul_f32_e32 v64, 0xbf08b237, v73
	v_mul_f32_e32 v73, 0x3f5ff5aa, v79
	v_add_co_ci_u32_e64 v60, s1, 0, v60, s1
	v_fma_f32 v79, 0x3f5ff5aa, v79, -v64
	v_fmamk_f32 v81, v66, 0x3eae86e6, v64
	v_fma_f32 v73, 0xbeae86e6, v66, -v73
	v_mul_f32_e32 v64, 0xbf08b237, v80
	v_mul_f32_e32 v66, 0x3f5ff5aa, v65
	v_fmac_f32_e32 v79, 0x3ee1c552, v62
	v_fmac_f32_e32 v81, 0x3ee1c552, v62
	v_fmac_f32_e32 v73, 0x3ee1c552, v62
	v_fma_f32 v65, 0x3f5ff5aa, v65, -v64
	v_fmamk_f32 v80, v69, 0x3eae86e6, v64
	v_fma_f32 v69, 0xbeae86e6, v69, -v66
	v_mul_f32_e32 v64, 0x3f4a47b2, v71
	v_mul_f32_e32 v66, 0x3d64c772, v67
	;; [unrolled: 1-line block ×3, first 2 shown]
	v_fmamk_f32 v62, v75, 0xbf955555, v58
	v_fmac_f32_e32 v65, 0x3ee1c552, v61
	v_fmamk_f32 v67, v67, 0x3d64c772, v64
	v_fma_f32 v66, 0x3f3bfb3b, v63, -v66
	v_fma_f32 v63, 0xbf3bfb3b, v63, -v64
	v_mul_f32_e32 v64, 0x3f4a47b2, v72
	v_fma_f32 v71, 0x3f3bfb3b, v70, -v71
	v_fmac_f32_e32 v80, 0x3ee1c552, v61
	v_add_f32_e32 v66, v66, v56
	v_fmac_f32_e32 v69, 0x3ee1c552, v61
	v_fmamk_f32 v72, v74, 0x3d64c772, v64
	v_fma_f32 v64, 0xbf3bfb3b, v70, -v64
	v_lshlrev_b32_e32 v70, 3, v78
	v_add_f32_e32 v82, v67, v56
	v_add_f32_e32 v67, v71, v62
	;; [unrolled: 1-line block ×4, first 2 shown]
	v_add_co_u32 v74, s1, s2, v70
	v_add_f32_e32 v56, v63, v56
	v_add_co_ci_u32_e64 v78, null, s3, 0, s1
	v_sub_f32_e32 v61, v66, v65
	v_add_f32_e32 v63, v65, v66
	v_sub_f32_e32 v66, v68, v73
	v_add_f32_e32 v68, v73, v68
	v_add_co_u32 v73, s1, 0x800, v74
	v_add_nc_u32_e32 v75, 0x1400, v202
	v_add_f32_e32 v62, v79, v67
	v_sub_f32_e32 v64, v67, v79
	v_add_f32_e32 v65, v69, v56
	v_sub_f32_e32 v67, v56, v69
	;; [unrolled: 2-line block ×3, first 2 shown]
	v_add_nc_u32_e32 v56, 0x1800, v202
	v_add_co_ci_u32_e64 v74, s1, 0, v78, s1
	v_sub_f32_e32 v71, v82, v80
	v_add_f32_e32 v72, v81, v72
	ds_write2_b64 v75, v[57:58], v[69:70] offset0:88 offset1:140
	ds_write2_b64 v56, v[65:66], v[61:62] offset0:64 offset1:116
	;; [unrolled: 1-line block ×3, first 2 shown]
	ds_write_b64 v202, v[71:72] offset:8320
	s_waitcnt lgkmcnt(0)
	s_barrier
	buffer_gl0_inv
	s_clause 0x1
	global_load_dwordx4 v[60:63], v[59:60], off offset:848
	global_load_dwordx4 v[56:59], v[73:74], off offset:848
	ds_read2_b64 v[64:67], v91 offset0:88 offset1:140
	ds_read2_b64 v[70:73], v94 offset0:160 offset1:212
	v_lshlrev_b32_e32 v68, 3, v77
	v_add_co_u32 v68, s1, s2, v68
	v_add_co_ci_u32_e64 v75, null, s3, 0, s1
	s_waitcnt vmcnt(1) lgkmcnt(1)
	v_mul_f32_e32 v69, v65, v63
	s_waitcnt vmcnt(0)
	v_mul_f32_e32 v74, v67, v59
	v_mul_f32_e32 v93, v66, v59
	;; [unrolled: 1-line block ×3, first 2 shown]
	s_waitcnt lgkmcnt(0)
	v_mul_f32_e32 v115, v70, v57
	v_fma_f32 v77, v64, v62, -v69
	v_fma_f32 v114, v66, v58, -v74
	v_add_co_u32 v66, s1, s2, v203
	v_fmac_f32_e32 v93, v67, v58
	v_add_co_ci_u32_e64 v67, null, s3, 0, s1
	v_add_co_u32 v64, s1, 0x800, v68
	v_fmac_f32_e32 v76, v65, v62
	v_add_co_ci_u32_e64 v65, s1, 0, v75, s1
	v_add_co_u32 v66, s1, 0x800, v66
	v_mul_f32_e32 v68, v71, v57
	v_add_co_ci_u32_e64 v67, s1, 0, v67, s1
	v_fmac_f32_e32 v115, v71, v56
	v_fma_f32 v116, v70, v56, -v68
	s_clause 0x1
	global_load_dwordx4 v[68:71], v[64:65], off offset:848
	global_load_dwordx4 v[64:67], v[66:67], off offset:848
	ds_read2_b64 v[84:87], v94 offset0:56 offset1:108
	s_waitcnt lgkmcnt(0)
	v_mul_f32_e32 v79, v86, v61
	v_fmac_f32_e32 v79, v87, v60
	v_sub_f32_e32 v106, v79, v76
	s_waitcnt vmcnt(1)
	v_mul_f32_e32 v74, v73, v69
	v_mul_f32_e32 v118, v72, v69
	v_fma_f32 v117, v72, v68, -v74
	v_mul_f32_e32 v72, v87, v61
	v_fmac_f32_e32 v118, v73, v68
	v_fma_f32 v78, v86, v60, -v72
	ds_read2_b64 v[72:75], v179 offset1:52
	v_sub_f32_e32 v107, v78, v77
	s_waitcnt lgkmcnt(0)
	v_add_f32_e32 v80, v73, v79
	v_add_f32_e32 v79, v79, v76
	v_add_f32_e32 v87, v80, v76
	v_add_f32_e32 v76, v72, v78
	v_fma_f32 v73, -0.5, v79, v73
	v_add_f32_e32 v86, v76, v77
	v_add_f32_e32 v76, v78, v77
	v_fmamk_f32 v105, v107, 0xbf5db3d7, v73
	v_fmac_f32_e32 v73, 0x3f5db3d7, v107
	v_fma_f32 v72, -0.5, v76, v72
	ds_read2_b64 v[76:79], v95 offset0:64 offset1:116
	ds_read2_b64 v[80:83], v90 offset0:8 offset1:60
	;; [unrolled: 1-line block ×4, first 2 shown]
	v_fmamk_f32 v104, v106, 0x3f5db3d7, v72
	v_fmac_f32_e32 v72, 0xbf5db3d7, v106
	ds_write_b64 v179, v[104:105] offset:2912
	ds_read2_b64 v[104:107], v179 offset0:104 offset1:156
	ds_read2_b64 v[108:111], v92 offset0:80 offset1:132
	ds_write_b64 v179, v[72:73] offset:5824
	v_add_f32_e32 v72, v74, v116
	v_add_f32_e32 v73, v75, v115
	ds_read_b64 v[112:113], v179 offset:8320
	v_add_f32_e32 v72, v72, v114
	v_add_f32_e32 v73, v73, v93
	s_waitcnt lgkmcnt(8)
	v_mul_f32_e32 v119, v76, v71
	s_waitcnt vmcnt(0)
	v_mul_f32_e32 v120, v78, v67
	s_waitcnt lgkmcnt(7)
	v_mul_f32_e32 v122, v80, v65
	ds_write2_b64 v179, v[86:87], v[72:73] offset1:52
	v_add_f32_e32 v72, v115, v93
	v_sub_f32_e32 v87, v115, v93
	v_add_f32_e32 v73, v116, v114
	v_sub_f32_e32 v93, v116, v114
	v_fmac_f32_e32 v119, v77, v70
	v_fmac_f32_e32 v75, -0.5, v72
	v_mul_f32_e32 v72, v77, v71
	v_fma_f32 v74, -0.5, v73, v74
	v_fmac_f32_e32 v120, v79, v66
	v_add_f32_e32 v73, v118, v119
	v_fmac_f32_e32 v122, v81, v64
	v_fma_f32 v116, v76, v70, -v72
	v_sub_f32_e32 v76, v118, v119
	v_fmamk_f32 v86, v87, 0x3f5db3d7, v74
	s_waitcnt lgkmcnt(4)
	v_fma_f32 v73, -0.5, v73, v105
	v_fmac_f32_e32 v74, 0xbf5db3d7, v87
	v_add_f32_e32 v72, v117, v116
	v_fmamk_f32 v87, v93, 0xbf5db3d7, v75
	v_fmac_f32_e32 v75, 0x3f5db3d7, v93
	v_fma_f32 v72, -0.5, v72, v104
	v_fmamk_f32 v114, v76, 0x3f5db3d7, v72
	v_fmac_f32_e32 v72, 0xbf5db3d7, v76
	v_sub_f32_e32 v76, v117, v116
	v_fmamk_f32 v115, v76, 0xbf5db3d7, v73
	v_fmac_f32_e32 v73, 0x3f5db3d7, v76
	v_mul_f32_e32 v76, v81, v65
	v_add_f32_e32 v81, v105, v118
	ds_write2_b64 v95, v[74:75], v[72:73] offset0:12 offset1:64
	v_mul_f32_e32 v72, v79, v67
	v_fma_f32 v121, v80, v64, -v76
	v_add_f32_e32 v81, v81, v119
	v_fma_f32 v93, v78, v66, -v72
	v_add_co_u32 v72, s1, s2, v129
	v_add_co_ci_u32_e64 v73, null, s3, 0, s1
	v_add_co_u32 v72, s1, 0x800, v72
	v_add_co_ci_u32_e64 v73, s1, 0, v73, s1
	v_add_co_u32 v74, s1, s2, v184
	v_add_co_ci_u32_e64 v75, null, s3, 0, s1
	v_add_co_u32 v74, s1, 0x800, v74
	v_add_co_ci_u32_e64 v75, s1, 0, v75, s1
	s_clause 0x1
	global_load_dwordx4 v[76:79], v[72:73], off offset:848
	global_load_dwordx4 v[72:75], v[74:75], off offset:848
	ds_write2_b64 v94, v[86:87], v[114:115] offset0:160 offset1:212
	s_waitcnt vmcnt(1)
	v_mul_f32_e32 v80, v83, v77
	v_mul_f32_e32 v124, v82, v77
	;; [unrolled: 1-line block ×3, first 2 shown]
	s_waitcnt vmcnt(0)
	v_mul_f32_e32 v204, v98, v75
	v_fma_f32 v123, v82, v76, -v80
	v_mul_f32_e32 v80, v97, v79
	v_fmac_f32_e32 v124, v83, v76
	v_add_f32_e32 v82, v106, v121
	v_add_f32_e32 v83, v107, v122
	v_fmac_f32_e32 v177, v97, v78
	v_fma_f32 v125, v96, v78, -v80
	v_mul_f32_e32 v80, v99, v75
	v_add_f32_e32 v82, v82, v93
	v_add_f32_e32 v83, v83, v120
	v_fmac_f32_e32 v204, v99, v74
	v_sub_f32_e32 v96, v123, v125
	v_fma_f32 v178, v98, v74, -v80
	v_add_f32_e32 v80, v104, v117
	s_waitcnt lgkmcnt(5)
	v_add_f32_e32 v97, v109, v124
	v_add_f32_e32 v80, v80, v116
	;; [unrolled: 1-line block ×3, first 2 shown]
	ds_write2_b64 v179, v[80:81], v[82:83] offset0:104 offset1:156
	v_add_f32_e32 v80, v122, v120
	v_add_f32_e32 v82, v121, v93
	v_sub_f32_e32 v81, v122, v120
	v_add_f32_e32 v83, v124, v177
	v_fmac_f32_e32 v107, -0.5, v80
	v_fma_f32 v106, -0.5, v82, v106
	v_sub_f32_e32 v82, v121, v93
	v_fma_f32 v83, -0.5, v83, v109
	v_sub_f32_e32 v93, v124, v177
	v_fmamk_f32 v80, v81, 0x3f5db3d7, v106
	v_fmac_f32_e32 v106, 0xbf5db3d7, v81
	v_fmamk_f32 v81, v82, 0xbf5db3d7, v107
	v_fmac_f32_e32 v107, 0x3f5db3d7, v82
	v_add_f32_e32 v82, v123, v125
	v_fmamk_f32 v87, v96, 0xbf5db3d7, v83
	v_fmac_f32_e32 v83, 0x3f5db3d7, v96
	ds_write_b64 v179, v[106:107] offset:7072
	v_fma_f32 v82, -0.5, v82, v108
	v_fmamk_f32 v86, v93, 0x3f5db3d7, v82
	v_fmac_f32_e32 v82, 0xbf5db3d7, v93
	v_add_f32_e32 v93, v108, v123
	ds_write2_b64 v90, v[80:81], v[86:87] offset0:8 offset1:60
	v_mul_f32_e32 v80, v101, v73
	v_fma_f32 v80, v100, v72, -v80
	v_add_f32_e32 v81, v80, v178
	v_add_f32_e32 v98, v110, v80
	v_sub_f32_e32 v80, v80, v178
	v_fma_f32 v110, -0.5, v81, v110
	v_mul_f32_e32 v81, v100, v73
	v_add_f32_e32 v98, v98, v178
	v_fmac_f32_e32 v81, v101, v72
	v_add_f32_e32 v86, v81, v204
	v_add_f32_e32 v99, v111, v81
	v_sub_f32_e32 v81, v81, v204
	v_fmac_f32_e32 v111, -0.5, v86
	v_add_f32_e32 v99, v99, v204
	v_fmamk_f32 v86, v81, 0x3f5db3d7, v110
	v_fmac_f32_e32 v110, 0xbf5db3d7, v81
	v_fmamk_f32 v87, v80, 0xbf5db3d7, v111
	v_fmac_f32_e32 v111, 0x3f5db3d7, v80
	v_add_co_u32 v80, s1, s2, v186
	v_add_co_ci_u32_e64 v81, null, s3, 0, s1
	ds_write2_b64 v95, v[82:83], v[110:111] offset0:168 offset1:220
	v_add_co_u32 v80, s1, 0x800, v80
	v_add_co_ci_u32_e64 v81, s1, 0, v81, s1
	v_add_co_u32 v177, s1, 0x2000, v88
	v_add_co_ci_u32_e64 v178, s1, 0, v89, s1
	global_load_dwordx4 v[80:83], v[80:81], off offset:848
	s_waitcnt vmcnt(0)
	v_mul_f32_e32 v96, v103, v81
	v_mul_f32_e32 v101, v102, v81
	v_fma_f32 v100, v102, v80, -v96
	v_add_f32_e32 v96, v93, v125
	s_waitcnt lgkmcnt(7)
	v_mul_f32_e32 v93, v113, v83
	v_fmac_f32_e32 v101, v103, v80
	ds_write2_b64 v92, v[96:97], v[98:99] offset0:80 offset1:132
	v_fma_f32 v93, v112, v82, -v93
	v_mul_f32_e32 v98, v112, v83
	v_add_f32_e32 v99, v84, v100
	v_add_f32_e32 v102, v85, v101
	;; [unrolled: 1-line block ×3, first 2 shown]
	v_fmac_f32_e32 v98, v113, v82
	v_sub_f32_e32 v100, v100, v93
	v_fma_f32 v84, -0.5, v96, v84
	v_add_f32_e32 v96, v101, v98
	v_sub_f32_e32 v101, v101, v98
	v_fmac_f32_e32 v85, -0.5, v96
	v_fmamk_f32 v96, v101, 0x3f5db3d7, v84
	v_fmac_f32_e32 v84, 0xbf5db3d7, v101
	v_fmamk_f32 v97, v100, 0xbf5db3d7, v85
	v_fmac_f32_e32 v85, 0x3f5db3d7, v100
	v_add_co_u32 v100, s1, 0x4000, v88
	v_add_co_ci_u32_e64 v101, s1, 0, v89, s1
	ds_write2_b64 v90, v[86:87], v[96:97] offset0:112 offset1:164
	v_add_f32_e32 v86, v99, v93
	v_add_f32_e32 v87, v102, v98
	ds_write_b64 v179, v[84:85] offset:8320
	ds_write_b64 v179, v[86:87] offset:2496
	s_waitcnt lgkmcnt(0)
	s_barrier
	buffer_gl0_inv
	s_clause 0x1
	global_load_dwordx2 v[86:87], v[177:178], off offset:544
	global_load_dwordx2 v[102:103], v[100:101], off offset:464
	ds_read2_b64 v[96:99], v179 offset1:52
	s_waitcnt vmcnt(1) lgkmcnt(0)
	v_mul_f32_e32 v93, v97, v87
	v_mul_f32_e32 v105, v96, v87
	v_fma_f32 v104, v96, v86, -v93
	v_fmac_f32_e32 v105, v97, v86
	v_add_co_u32 v86, s1, 0x2220, v88
	v_add_co_ci_u32_e64 v87, s1, 0, v89, s1
	s_clause 0x3
	global_load_dwordx2 v[96:97], v[86:87], off offset:416
	global_load_dwordx2 v[106:107], v[86:87], off offset:832
	;; [unrolled: 1-line block ×4, first 2 shown]
	ds_write_b64 v179, v[104:105]
	s_waitcnt vmcnt(3)
	v_mul_f32_e32 v93, v99, v97
	v_mul_f32_e32 v113, v98, v97
	v_fma_f32 v112, v98, v96, -v93
	v_fmac_f32_e32 v113, v99, v96
	v_add_co_u32 v96, s1, 0x3000, v88
	v_add_co_ci_u32_e64 v97, s1, 0, v89, s1
	s_clause 0x3
	global_load_dwordx2 v[104:105], v[96:97], off offset:816
	global_load_dwordx2 v[114:115], v[96:97], off offset:1232
	;; [unrolled: 1-line block ×4, first 2 shown]
	ds_read2_b64 v[96:99], v90 offset0:34 offset1:86
	s_waitcnt vmcnt(3) lgkmcnt(0)
	v_mul_f32_e32 v93, v97, v105
	v_mul_f32_e32 v121, v96, v105
	s_waitcnt vmcnt(2)
	v_mul_f32_e32 v105, v98, v115
	v_fma_f32 v120, v96, v104, -v93
	v_mul_f32_e32 v93, v99, v115
	v_fmac_f32_e32 v121, v97, v104
	v_fmac_f32_e32 v105, v99, v114
	v_fma_f32 v104, v98, v114, -v93
	ds_read2_b64 v[96:99], v179 offset0:104 offset1:156
	s_waitcnt lgkmcnt(0)
	v_mul_f32_e32 v93, v97, v107
	v_mul_f32_e32 v115, v96, v107
	;; [unrolled: 1-line block ×3, first 2 shown]
	v_fma_f32 v114, v96, v106, -v93
	v_mul_f32_e32 v93, v99, v109
	v_fmac_f32_e32 v115, v97, v106
	v_fmac_f32_e32 v107, v99, v108
	v_fma_f32 v106, v98, v108, -v93
	ds_read2_b64 v[96:99], v90 offset0:138 offset1:190
	s_waitcnt vmcnt(1) lgkmcnt(0)
	v_mul_f32_e32 v93, v97, v117
	v_mul_f32_e32 v109, v96, v117
	v_fma_f32 v108, v96, v116, -v93
	v_fmac_f32_e32 v109, v97, v116
	v_add_co_u32 v116, s1, 0x3800, v88
	v_add_co_ci_u32_e64 v117, s1, 0, v89, s1
	s_clause 0x3
	global_load_dwordx2 v[96:97], v[116:117], off offset:16
	global_load_dwordx2 v[122:123], v[116:117], off offset:432
	;; [unrolled: 1-line block ×4, first 2 shown]
	v_add_co_u32 v88, s1, 0x2800, v88
	v_add_co_ci_u32_e64 v89, s1, 0, v89, s1
	s_waitcnt vmcnt(3)
	v_mul_f32_e32 v93, v99, v97
	v_mul_f32_e32 v207, v98, v97
	v_fma_f32 v206, v98, v96, -v93
	v_fmac_f32_e32 v207, v99, v96
	ds_read2_b64 v[96:99], v92 offset0:80 offset1:132
	s_waitcnt lgkmcnt(0)
	v_mul_f32_e32 v93, v97, v111
	v_mul_f32_e32 v209, v96, v111
	v_fma_f32 v208, v96, v110, -v93
	v_fmac_f32_e32 v209, v97, v110
	s_clause 0x3
	global_load_dwordx2 v[110:111], v[88:89], off offset:992
	global_load_dwordx2 v[210:211], v[88:89], off offset:1408
	;; [unrolled: 1-line block ×4, first 2 shown]
	s_waitcnt vmcnt(0)
	v_mul_f32_e32 v93, v99, v97
	v_mul_f32_e32 v213, v98, v97
	v_fma_f32 v212, v98, v96, -v93
	v_fmac_f32_e32 v213, v99, v96
	ds_read2_b64 v[96:99], v91 offset0:114 offset1:166
	s_waitcnt lgkmcnt(0)
	v_mul_f32_e32 v93, v97, v123
	v_mul_f32_e32 v215, v96, v123
	;; [unrolled: 1-line block ×3, first 2 shown]
	v_fma_f32 v214, v96, v122, -v93
	v_mul_f32_e32 v93, v99, v125
	v_fmac_f32_e32 v215, v97, v122
	v_fmac_f32_e32 v123, v99, v124
	v_fma_f32 v122, v98, v124, -v93
	ds_read2_b64 v[96:99], v94 offset0:56 offset1:108
	s_waitcnt lgkmcnt(0)
	v_mul_f32_e32 v93, v97, v111
	v_mul_f32_e32 v125, v96, v111
	;; [unrolled: 1-line block ×3, first 2 shown]
	v_fma_f32 v124, v96, v110, -v93
	v_mul_f32_e32 v93, v99, v211
	v_fmac_f32_e32 v125, v97, v110
	v_fmac_f32_e32 v111, v99, v210
	v_fma_f32 v110, v98, v210, -v93
	ds_read2_b64 v[96:99], v95 offset0:90 offset1:142
	s_clause 0x1
	global_load_dwordx2 v[88:89], v[88:89], off offset:1824
	global_load_dwordx2 v[100:101], v[100:101], off offset:48
	s_waitcnt lgkmcnt(0)
	v_mul_f32_e32 v93, v97, v205
	v_mul_f32_e32 v211, v96, v205
	;; [unrolled: 1-line block ×3, first 2 shown]
	v_fma_f32 v210, v96, v204, -v93
	v_mul_f32_e32 v93, v99, v117
	v_fmac_f32_e32 v211, v97, v204
	v_fmac_f32_e32 v205, v99, v116
	v_fma_f32 v204, v98, v116, -v93
	ds_read2_b64 v[96:99], v94 offset0:160 offset1:212
	s_waitcnt vmcnt(1) lgkmcnt(0)
	v_mul_f32_e32 v93, v97, v89
	v_mul_f32_e32 v117, v96, v89
	;; [unrolled: 1-line block ×3, first 2 shown]
	v_fma_f32 v116, v96, v88, -v93
	v_fmac_f32_e32 v117, v97, v88
	v_mul_f32_e32 v88, v99, v119
	v_fmac_f32_e32 v89, v99, v118
	v_fma_f32 v88, v98, v118, -v88
	ds_read2_b64 v[96:99], v95 offset0:194 offset1:246
	s_waitcnt vmcnt(0) lgkmcnt(0)
	v_mul_f32_e32 v93, v97, v101
	v_mul_f32_e32 v119, v96, v101
	v_fma_f32 v118, v96, v100, -v93
	v_mul_f32_e32 v93, v99, v103
	v_fmac_f32_e32 v119, v97, v100
	v_mul_f32_e32 v97, v98, v103
	v_fma_f32 v96, v98, v102, -v93
	v_add_nc_u32_e32 v93, 0xc00, v179
	v_fmac_f32_e32 v97, v99, v102
	ds_write2_b64 v93, v[88:89], v[120:121] offset0:84 offset1:162
	ds_write2_b64 v179, v[112:113], v[114:115] offset0:52 offset1:104
	;; [unrolled: 1-line block ×9, first 2 shown]
	ds_write_b64 v179, v[96:97] offset:8112
	s_and_saveexec_b32 s2, vcc_lo
	s_cbranch_execz .LBB0_17
; %bb.16:
	v_add_co_u32 v88, s1, 0x1000, v86
	v_add_co_ci_u32_e64 v89, s1, 0, v87, s1
	v_add_co_u32 v86, s1, 0x2000, v86
	v_add_co_ci_u32_e64 v87, s1, 0, v87, s1
	s_clause 0x1
	global_load_dwordx2 v[88:89], v[88:89], off offset:64
	global_load_dwordx2 v[86:87], v[86:87], off offset:336
	ds_read_b64 v[96:97], v179 offset:4160
	ds_read_b64 v[98:99], v179 offset:8528
	s_waitcnt vmcnt(1) lgkmcnt(1)
	v_mul_f32_e32 v93, v97, v89
	v_mul_f32_e32 v101, v96, v89
	s_waitcnt vmcnt(0) lgkmcnt(0)
	v_mul_f32_e32 v102, v99, v87
	v_mul_f32_e32 v89, v98, v87
	v_fma_f32 v100, v96, v88, -v93
	v_fmac_f32_e32 v101, v97, v88
	v_fma_f32 v88, v98, v86, -v102
	v_fmac_f32_e32 v89, v99, v86
	ds_write_b64 v179, v[100:101] offset:4160
	ds_write_b64 v179, v[88:89] offset:8528
.LBB0_17:
	s_or_b32 exec_lo, exec_lo, s2
	s_waitcnt lgkmcnt(0)
	s_barrier
	buffer_gl0_inv
	ds_read2_b64 v[110:113], v179 offset1:52
	ds_read2_b64 v[122:125], v90 offset0:34 offset1:86
	ds_read2_b64 v[102:105], v179 offset0:104 offset1:156
	;; [unrolled: 1-line block ×9, first 2 shown]
	v_lshlrev_b32_e32 v204, 3, v197
	v_lshlrev_b32_e32 v198, 3, v198
	;; [unrolled: 1-line block ×3, first 2 shown]
	s_and_saveexec_b32 s1, vcc_lo
	s_cbranch_execz .LBB0_19
; %bb.18:
	ds_read_b64 v[84:85], v179 offset:4160
	ds_read_b64 v[36:37], v179 offset:8528
.LBB0_19:
	s_or_b32 exec_lo, exec_lo, s1
	s_waitcnt lgkmcnt(8)
	v_sub_f32_e32 v124, v112, v124
	v_sub_f32_e32 v125, v113, v125
	s_waitcnt lgkmcnt(2)
	v_sub_f32_e32 v215, v92, v108
	v_sub_f32_e32 v216, v93, v109
	;; [unrolled: 1-line block ×6, first 2 shown]
	v_fma_f32 v122, v112, 2.0, -v124
	v_sub_f32_e32 v112, v104, v120
	v_fma_f32 v123, v113, 2.0, -v125
	v_sub_f32_e32 v113, v105, v121
	v_sub_f32_e32 v106, v90, v106
	;; [unrolled: 1-line block ×3, first 2 shown]
	v_fma_f32 v213, v92, 2.0, -v215
	v_fma_f32 v214, v93, 2.0, -v216
	s_waitcnt lgkmcnt(0)
	v_sub_f32_e32 v92, v84, v36
	v_sub_f32_e32 v93, v85, v37
	v_sub_f32_e32 v118, v98, v114
	v_sub_f32_e32 v119, v99, v115
	v_fma_f32 v205, v110, 2.0, -v207
	v_fma_f32 v206, v111, 2.0, -v208
	;; [unrolled: 1-line block ×5, first 2 shown]
	v_sub_f32_e32 v102, v100, v116
	v_fma_f32 v111, v105, 2.0, -v113
	v_sub_f32_e32 v103, v101, v117
	v_fma_f32 v104, v90, 2.0, -v106
	;; [unrolled: 2-line block ×3, first 2 shown]
	v_sub_f32_e32 v220, v87, v95
	v_sub_f32_e32 v96, v88, v96
	;; [unrolled: 1-line block ×3, first 2 shown]
	v_fma_f32 v90, v84, 2.0, -v92
	v_fma_f32 v91, v85, 2.0, -v93
	;; [unrolled: 1-line block ×10, first 2 shown]
	s_barrier
	buffer_gl0_inv
	ds_write_b128 v126, v[205:208]
	ds_write_b128 v127, v[122:125]
	;; [unrolled: 1-line block ×10, first 2 shown]
	s_and_saveexec_b32 s1, vcc_lo
	s_cbranch_execz .LBB0_21
; %bb.20:
	ds_write_b128 v185, v[90:93]
.LBB0_21:
	s_or_b32 exec_lo, exec_lo, s1
	v_add_nc_u32_e32 v36, 0x1000, v179
	v_add_nc_u32_e32 v37, 0x400, v179
	;; [unrolled: 1-line block ×5, first 2 shown]
	s_waitcnt lgkmcnt(0)
	s_barrier
	buffer_gl0_inv
	ds_read2_b64 v[94:97], v179 offset1:52
	ds_read2_b64 v[122:125], v36 offset0:34 offset1:86
	ds_read2_b64 v[84:87], v179 offset0:104 offset1:156
	;; [unrolled: 1-line block ×9, first 2 shown]
	s_and_saveexec_b32 s1, vcc_lo
	s_cbranch_execz .LBB0_23
; %bb.22:
	ds_read_b64 v[90:91], v179 offset:4160
	ds_read_b64 v[92:93], v179 offset:8528
.LBB0_23:
	s_or_b32 exec_lo, exec_lo, s1
	s_waitcnt lgkmcnt(8)
	v_mul_f32_e32 v37, v174, v122
	v_mul_f32_e32 v36, v174, v123
	v_mul_f32_e32 v88, v174, v125
	v_mul_f32_e32 v89, v174, v124
	s_waitcnt lgkmcnt(2)
	v_mul_f32_e32 v184, v174, v115
	v_fma_f32 v37, v173, v123, -v37
	v_mul_f32_e32 v123, v174, v126
	v_fmac_f32_e32 v36, v173, v122
	v_mul_f32_e32 v122, v174, v127
	s_waitcnt lgkmcnt(0)
	v_mul_f32_e32 v198, v174, v113
	v_fmac_f32_e32 v88, v173, v124
	v_fma_f32 v123, v173, v127, -v123
	v_mul_f32_e32 v127, v174, v118
	v_fmac_f32_e32 v122, v173, v126
	v_mul_f32_e32 v126, v174, v119
	v_fma_f32 v89, v173, v125, -v89
	v_mul_f32_e32 v124, v174, v129
	v_fma_f32 v127, v173, v119, -v127
	v_mul_f32_e32 v119, v174, v114
	v_mul_f32_e32 v125, v174, v128
	v_fmac_f32_e32 v184, v173, v114
	v_mul_f32_e32 v185, v174, v117
	v_mul_f32_e32 v114, v174, v116
	v_fma_f32 v186, v173, v115, -v119
	v_mul_f32_e32 v115, v174, v110
	v_mul_f32_e32 v197, v174, v111
	v_fmac_f32_e32 v198, v173, v112
	v_mul_f32_e32 v204, v174, v93
	v_fmac_f32_e32 v124, v173, v128
	v_fma_f32 v203, v173, v111, -v115
	v_mul_f32_e32 v111, v174, v112
	v_mul_f32_e32 v112, v174, v92
	v_fma_f32 v125, v173, v129, -v125
	v_fmac_f32_e32 v126, v173, v118
	v_mul_f32_e32 v128, v174, v121
	v_mul_f32_e32 v118, v174, v120
	v_fmac_f32_e32 v185, v173, v116
	v_fma_f32 v199, v173, v117, -v114
	v_fmac_f32_e32 v197, v173, v110
	v_sub_f32_e32 v110, v94, v36
	v_fma_f32 v36, v173, v113, -v111
	v_sub_f32_e32 v111, v95, v37
	v_fmac_f32_e32 v204, v173, v92
	v_fma_f32 v37, v173, v93, -v112
	v_sub_f32_e32 v114, v96, v88
	v_sub_f32_e32 v115, v97, v89
	v_fmac_f32_e32 v128, v173, v120
	v_fma_f32 v129, v173, v121, -v118
	v_sub_f32_e32 v116, v84, v122
	v_sub_f32_e32 v117, v85, v123
	v_fma_f32 v118, v96, 2.0, -v114
	v_sub_f32_e32 v120, v86, v124
	v_fma_f32 v119, v97, 2.0, -v115
	v_sub_f32_e32 v121, v87, v125
	v_sub_f32_e32 v96, v104, v185
	v_sub_f32_e32 v97, v105, v199
	v_sub_f32_e32 v92, v98, v197
	v_sub_f32_e32 v93, v99, v203
	v_sub_f32_e32 v88, v100, v198
	v_sub_f32_e32 v89, v101, v36
	v_sub_f32_e32 v36, v90, v204
	v_sub_f32_e32 v37, v91, v37
	v_sub_f32_e32 v126, v106, v126
	v_sub_f32_e32 v127, v107, v127
	v_fma_f32 v112, v94, 2.0, -v110
	v_fma_f32 v113, v95, 2.0, -v111
	;; [unrolled: 1-line block ×5, first 2 shown]
	v_sub_f32_e32 v128, v108, v128
	v_fma_f32 v125, v87, 2.0, -v121
	v_sub_f32_e32 v129, v109, v129
	v_sub_f32_e32 v84, v102, v184
	;; [unrolled: 1-line block ×3, first 2 shown]
	v_fma_f32 v86, v104, 2.0, -v96
	v_fma_f32 v87, v105, 2.0, -v97
	;; [unrolled: 1-line block ×14, first 2 shown]
	s_barrier
	buffer_gl0_inv
	ds_write2_b64 v196, v[112:113], v[110:111] offset1:2
	ds_write2_b64 v195, v[118:119], v[114:115] offset1:2
	;; [unrolled: 1-line block ×10, first 2 shown]
	s_and_saveexec_b32 s1, vcc_lo
	s_cbranch_execz .LBB0_25
; %bb.24:
	v_and_or_b32 v100, 0x47c, v183, v182
	v_lshlrev_b32_e32 v100, 3, v100
	ds_write2_b64 v100, v[90:91], v[36:37] offset1:2
.LBB0_25:
	s_or_b32 exec_lo, exec_lo, s1
	v_add_nc_u32_e32 v126, 0x800, v179
	v_add_nc_u32_e32 v104, 0xc00, v179
	;; [unrolled: 1-line block ×4, first 2 shown]
	s_waitcnt lgkmcnt(0)
	s_barrier
	buffer_gl0_inv
	ds_read2_b64 v[100:103], v179 offset1:84
	ds_read2_b64 v[120:123], v179 offset0:168 offset1:252
	ds_read2_b64 v[116:119], v126 offset0:80 offset1:164
	;; [unrolled: 1-line block ×5, first 2 shown]
	ds_read_b64 v[124:125], v179 offset:8064
	s_and_saveexec_b32 s1, s0
	s_cbranch_execz .LBB0_27
; %bb.26:
	v_add_nc_u32_e32 v36, 0x400, v179
	v_add_nc_u32_e32 v37, 0x1400, v179
	ds_read2_b64 v[84:87], v179 offset0:52 offset1:136
	ds_read2_b64 v[92:95], v126 offset0:132 offset1:216
	;; [unrolled: 1-line block ×6, first 2 shown]
	ds_read_b64 v[175:176], v179 offset:8480
.LBB0_27:
	s_or_b32 exec_lo, exec_lo, s1
	s_waitcnt lgkmcnt(6)
	v_mul_f32_e32 v126, v13, v103
	v_mul_f32_e32 v127, v13, v102
	s_waitcnt lgkmcnt(5)
	v_mul_f32_e32 v128, v15, v121
	v_mul_f32_e32 v129, v15, v120
	v_mul_f32_e32 v173, v9, v123
	v_fmac_f32_e32 v126, v12, v102
	v_fma_f32 v102, v12, v103, -v127
	v_mul_f32_e32 v103, v9, v122
	v_fmac_f32_e32 v128, v14, v120
	s_waitcnt lgkmcnt(4)
	v_mul_f32_e32 v127, v11, v116
	v_mul_f32_e32 v120, v1, v119
	v_fma_f32 v121, v14, v121, -v129
	v_fma_f32 v123, v8, v123, -v103
	v_mul_f32_e32 v103, v1, v118
	v_fmac_f32_e32 v173, v8, v122
	v_mul_f32_e32 v122, v11, v117
	v_fma_f32 v127, v10, v117, -v127
	v_fmac_f32_e32 v120, v0, v118
	v_fma_f32 v117, v0, v119, -v103
	s_waitcnt lgkmcnt(3)
	v_mul_f32_e32 v103, v3, v112
	v_add_f32_e32 v118, v100, v126
	v_add_f32_e32 v119, v101, v102
	v_fmac_f32_e32 v122, v10, v116
	v_mul_f32_e32 v116, v3, v113
	v_fma_f32 v113, v2, v113, -v103
	v_add_f32_e32 v103, v118, v128
	v_add_f32_e32 v118, v119, v121
	v_mul_f32_e32 v119, v5, v114
	v_fmac_f32_e32 v116, v2, v112
	v_mul_f32_e32 v112, v5, v115
	s_waitcnt lgkmcnt(2)
	v_mul_f32_e32 v129, v7, v109
	v_add_f32_e32 v103, v103, v173
	v_add_f32_e32 v118, v118, v123
	s_waitcnt lgkmcnt(0)
	v_fmac_f32_e32 v112, v4, v114
	v_fma_f32 v114, v4, v115, -v119
	v_mul_f32_e32 v115, v7, v108
	v_fmac_f32_e32 v129, v6, v108
	v_add_f32_e32 v103, v103, v122
	v_add_f32_e32 v108, v118, v127
	v_mul_f32_e32 v118, v17, v111
	v_fma_f32 v109, v6, v109, -v115
	v_mul_f32_e32 v115, v17, v110
	v_add_f32_e32 v103, v103, v120
	v_add_f32_e32 v108, v108, v117
	v_fmac_f32_e32 v118, v16, v110
	v_mul_f32_e32 v110, v19, v105
	v_fma_f32 v111, v16, v111, -v115
	v_add_f32_e32 v103, v103, v116
	v_add_f32_e32 v108, v108, v113
	v_mul_f32_e32 v115, v19, v104
	v_fmac_f32_e32 v110, v18, v104
	v_mul_f32_e32 v104, v21, v107
	v_add_f32_e32 v103, v103, v112
	v_add_f32_e32 v108, v108, v114
	v_fma_f32 v105, v18, v105, -v115
	v_mul_f32_e32 v115, v23, v124
	v_mul_f32_e32 v119, v23, v125
	v_add_f32_e32 v103, v103, v129
	v_add_f32_e32 v108, v108, v109
	v_fmac_f32_e32 v104, v20, v106
	v_fma_f32 v115, v22, v125, -v115
	v_mul_f32_e32 v106, v21, v106
	v_add_f32_e32 v103, v103, v118
	v_add_f32_e32 v108, v108, v111
	v_fmac_f32_e32 v119, v22, v124
	v_sub_f32_e32 v124, v102, v115
	v_fma_f32 v106, v20, v107, -v106
	v_add_f32_e32 v103, v103, v110
	v_add_f32_e32 v107, v108, v105
	;; [unrolled: 1-line block ×3, first 2 shown]
	v_mul_f32_e32 v125, 0xbeedf032, v124
	v_add_f32_e32 v174, v102, v115
	v_add_f32_e32 v102, v103, v104
	;; [unrolled: 1-line block ×3, first 2 shown]
	v_sub_f32_e32 v107, v126, v119
	v_fmamk_f32 v126, v108, 0x3f62ad3f, v125
	v_sub_f32_e32 v199, v121, v106
	v_mul_f32_e32 v182, 0x3f62ad3f, v174
	v_add_f32_e32 v103, v103, v115
	v_mul_f32_e32 v183, 0x3f116cb1, v174
	v_add_f32_e32 v115, v100, v126
	v_mul_f32_e32 v126, 0xbf52af12, v124
	v_mul_f32_e32 v186, 0xbf7e222b, v124
	;; [unrolled: 1-line block ×9, first 2 shown]
	v_add_f32_e32 v204, v128, v104
	v_mul_f32_e32 v205, 0xbf52af12, v199
	v_add_f32_e32 v106, v121, v106
	v_add_f32_e32 v102, v102, v119
	v_fmamk_f32 v119, v107, 0x3eedf032, v182
	v_fma_f32 v125, 0x3f62ad3f, v108, -v125
	v_fmac_f32_e32 v182, 0xbeedf032, v107
	v_fmamk_f32 v184, v108, 0x3f116cb1, v126
	v_fmamk_f32 v185, v107, 0x3f52af12, v183
	v_fma_f32 v126, 0x3f116cb1, v108, -v126
	v_fmac_f32_e32 v183, 0xbf52af12, v107
	v_fmamk_f32 v187, v108, 0x3df6dbef, v186
	;; [unrolled: 4-line block ×5, first 2 shown]
	v_fmamk_f32 v203, v107, 0x3e750f2a, v174
	v_fma_f32 v108, 0xbf788fa5, v108, -v124
	v_fmac_f32_e32 v174, 0xbe750f2a, v107
	v_sub_f32_e32 v104, v128, v104
	v_fmamk_f32 v107, v204, 0x3f116cb1, v205
	v_mul_f32_e32 v121, 0x3f116cb1, v106
	v_add_f32_e32 v119, v101, v119
	v_add_f32_e32 v125, v100, v125
	;; [unrolled: 1-line block ×24, first 2 shown]
	v_fmamk_f32 v108, v104, 0x3f52af12, v121
	v_mul_f32_e32 v115, 0xbf6f5d39, v199
	v_fma_f32 v128, 0x3f116cb1, v204, -v205
	v_fmac_f32_e32 v121, 0xbf52af12, v104
	v_mul_f32_e32 v174, 0xbeb58ec6, v106
	v_add_f32_e32 v108, v108, v119
	v_fmamk_f32 v119, v204, 0xbeb58ec6, v115
	v_add_f32_e32 v125, v128, v125
	v_add_f32_e32 v121, v121, v182
	v_fmamk_f32 v128, v104, 0x3f6f5d39, v174
	v_mul_f32_e32 v182, 0xbe750f2a, v199
	v_fma_f32 v115, 0xbeb58ec6, v204, -v115
	v_fmac_f32_e32 v174, 0xbf6f5d39, v104
	v_add_f32_e32 v119, v119, v184
	v_add_f32_e32 v128, v128, v185
	v_fmamk_f32 v184, v204, 0xbf788fa5, v182
	v_mul_f32_e32 v185, 0xbf788fa5, v106
	v_add_f32_e32 v115, v115, v126
	v_add_f32_e32 v126, v174, v183
	v_mul_f32_e32 v174, 0x3f29c268, v199
	v_add_f32_e32 v183, v184, v187
	v_fmamk_f32 v184, v104, 0x3e750f2a, v185
	v_fma_f32 v182, 0xbf788fa5, v204, -v182
	v_fmac_f32_e32 v185, 0xbe750f2a, v104
	v_fmamk_f32 v187, v204, 0xbf3f9e67, v174
	v_mul_f32_e32 v203, 0xbf3f9e67, v106
	v_add_f32_e32 v184, v184, v190
	v_add_f32_e32 v182, v182, v186
	;; [unrolled: 1-line block ×4, first 2 shown]
	v_fmamk_f32 v187, v104, 0xbf29c268, v203
	v_mul_f32_e32 v188, 0x3f7e222b, v199
	v_fma_f32 v174, 0xbf3f9e67, v204, -v174
	v_mul_f32_e32 v190, 0x3df6dbef, v106
	v_mul_f32_e32 v106, 0x3f62ad3f, v106
	v_add_f32_e32 v187, v187, v193
	v_fmamk_f32 v191, v204, 0x3df6dbef, v188
	v_mul_f32_e32 v193, 0x3eedf032, v199
	v_fma_f32 v188, 0x3df6dbef, v204, -v188
	v_add_f32_e32 v174, v174, v189
	v_fmamk_f32 v189, v104, 0xbf7e222b, v190
	v_add_f32_e32 v191, v191, v196
	v_fmac_f32_e32 v190, 0x3f7e222b, v104
	v_fmamk_f32 v196, v204, 0x3f62ad3f, v193
	v_add_f32_e32 v188, v188, v194
	v_sub_f32_e32 v194, v123, v105
	v_add_f32_e32 v189, v189, v197
	v_add_f32_e32 v190, v190, v195
	v_add_f32_e32 v195, v196, v198
	v_add_f32_e32 v197, v173, v110
	v_mul_f32_e32 v198, 0xbf7e222b, v194
	v_add_f32_e32 v105, v123, v105
	v_fmac_f32_e32 v203, 0x3f29c268, v104
	v_fmamk_f32 v196, v104, 0xbeedf032, v106
	v_fma_f32 v123, 0x3f62ad3f, v204, -v193
	v_fmac_f32_e32 v106, 0x3eedf032, v104
	v_sub_f32_e32 v104, v173, v110
	v_fmamk_f32 v110, v197, 0x3df6dbef, v198
	v_mul_f32_e32 v173, 0x3df6dbef, v105
	v_add_f32_e32 v100, v123, v100
	v_add_f32_e32 v101, v106, v101
	v_fma_f32 v123, 0x3df6dbef, v197, -v198
	v_add_f32_e32 v106, v110, v107
	v_fmamk_f32 v107, v104, 0x3f7e222b, v173
	v_mul_f32_e32 v110, 0xbe750f2a, v194
	v_fmac_f32_e32 v173, 0xbf7e222b, v104
	v_mul_f32_e32 v193, 0xbf788fa5, v105
	v_add_f32_e32 v123, v123, v125
	v_add_f32_e32 v107, v107, v108
	v_fmamk_f32 v108, v197, 0xbf788fa5, v110
	v_add_f32_e32 v121, v173, v121
	v_fmamk_f32 v125, v104, 0x3e750f2a, v193
	v_mul_f32_e32 v173, 0x3f6f5d39, v194
	v_add_f32_e32 v124, v196, v124
	v_add_f32_e32 v108, v108, v119
	v_fma_f32 v110, 0xbf788fa5, v197, -v110
	v_add_f32_e32 v119, v125, v128
	v_fmamk_f32 v125, v197, 0xbeb58ec6, v173
	v_mul_f32_e32 v128, 0xbeb58ec6, v105
	v_fmac_f32_e32 v193, 0xbe750f2a, v104
	v_mul_f32_e32 v196, 0x3f62ad3f, v105
	v_add_f32_e32 v110, v110, v115
	v_add_f32_e32 v125, v125, v183
	v_fmamk_f32 v183, v104, 0xbf6f5d39, v128
	v_fmac_f32_e32 v128, 0x3f6f5d39, v104
	v_add_f32_e32 v115, v193, v126
	v_mul_f32_e32 v126, 0x3eedf032, v194
	v_fma_f32 v173, 0xbeb58ec6, v197, -v173
	v_add_f32_e32 v183, v183, v184
	v_add_f32_e32 v128, v128, v185
	v_fmamk_f32 v184, v104, 0xbeedf032, v196
	v_mul_f32_e32 v185, 0xbf52af12, v194
	v_fmamk_f32 v193, v197, 0x3f62ad3f, v126
	v_add_f32_e32 v173, v173, v182
	v_fma_f32 v126, 0x3f62ad3f, v197, -v126
	v_add_f32_e32 v184, v184, v187
	v_fmamk_f32 v187, v197, 0x3f116cb1, v185
	v_fma_f32 v185, 0x3f116cb1, v197, -v185
	v_add_f32_e32 v182, v193, v186
	v_mul_f32_e32 v186, 0x3f116cb1, v105
	v_add_f32_e32 v126, v126, v174
	v_mul_f32_e32 v193, 0xbf29c268, v194
	v_add_f32_e32 v185, v185, v188
	v_sub_f32_e32 v188, v127, v111
	v_fmamk_f32 v174, v104, 0x3f52af12, v186
	v_add_f32_e32 v187, v187, v191
	v_fmac_f32_e32 v186, 0xbf52af12, v104
	v_mul_f32_e32 v105, 0xbf3f9e67, v105
	v_add_f32_e32 v191, v122, v118
	v_mul_f32_e32 v194, 0xbf6f5d39, v188
	v_add_f32_e32 v111, v127, v111
	v_fmac_f32_e32 v196, 0x3eedf032, v104
	v_add_f32_e32 v186, v186, v190
	v_fmamk_f32 v190, v104, 0x3f29c268, v105
	v_fmac_f32_e32 v105, 0xbf29c268, v104
	v_sub_f32_e32 v104, v122, v118
	v_fmamk_f32 v118, v191, 0xbeb58ec6, v194
	v_mul_f32_e32 v122, 0xbeb58ec6, v111
	v_fma_f32 v127, 0xbf3f9e67, v197, -v193
	v_add_f32_e32 v101, v105, v101
	v_add_f32_e32 v124, v190, v124
	;; [unrolled: 1-line block ×3, first 2 shown]
	v_fmamk_f32 v106, v104, 0x3f6f5d39, v122
	v_mul_f32_e32 v118, 0x3f29c268, v188
	v_add_f32_e32 v100, v127, v100
	v_fma_f32 v127, 0xbeb58ec6, v191, -v194
	v_fmac_f32_e32 v122, 0xbf6f5d39, v104
	v_mul_f32_e32 v190, 0xbf3f9e67, v111
	v_add_f32_e32 v106, v106, v107
	v_fmamk_f32 v107, v191, 0xbf3f9e67, v118
	v_add_f32_e32 v123, v127, v123
	v_add_f32_e32 v121, v122, v121
	v_fmamk_f32 v122, v104, 0xbf29c268, v190
	v_mul_f32_e32 v127, 0x3eedf032, v188
	v_add_f32_e32 v107, v107, v108
	v_fma_f32 v108, 0xbf3f9e67, v191, -v118
	v_fmac_f32_e32 v190, 0x3f29c268, v104
	v_add_f32_e32 v118, v122, v119
	v_fmamk_f32 v119, v191, 0x3f62ad3f, v127
	v_mul_f32_e32 v122, 0x3f62ad3f, v111
	v_add_f32_e32 v108, v108, v110
	v_add_f32_e32 v110, v190, v115
	v_mul_f32_e32 v115, 0xbf7e222b, v188
	v_add_f32_e32 v174, v174, v189
	v_fmamk_f32 v189, v197, 0xbf3f9e67, v193
	v_add_f32_e32 v119, v119, v125
	v_fmamk_f32 v125, v104, 0xbeedf032, v122
	v_fma_f32 v127, 0x3f62ad3f, v191, -v127
	v_fmac_f32_e32 v122, 0x3eedf032, v104
	v_fmamk_f32 v190, v191, 0x3df6dbef, v115
	v_mul_f32_e32 v193, 0x3df6dbef, v111
	v_add_f32_e32 v125, v125, v183
	v_add_f32_e32 v127, v127, v173
	;; [unrolled: 1-line block ×4, first 2 shown]
	v_fmamk_f32 v173, v104, 0x3f7e222b, v193
	v_mul_f32_e32 v182, 0x3e750f2a, v188
	v_fma_f32 v115, 0x3df6dbef, v191, -v115
	v_mul_f32_e32 v183, 0xbf788fa5, v111
	v_mul_f32_e32 v188, 0x3f52af12, v188
	v_add_f32_e32 v173, v173, v184
	v_fmamk_f32 v184, v191, 0xbf788fa5, v182
	v_add_f32_e32 v115, v115, v126
	v_fmamk_f32 v126, v104, 0xbe750f2a, v183
	v_fma_f32 v182, 0xbf788fa5, v191, -v182
	v_add_f32_e32 v189, v189, v195
	v_fmac_f32_e32 v183, 0x3e750f2a, v104
	v_mul_f32_e32 v111, 0x3f116cb1, v111
	v_add_f32_e32 v126, v126, v174
	v_fmamk_f32 v174, v191, 0x3f116cb1, v188
	v_add_f32_e32 v182, v182, v185
	v_sub_f32_e32 v185, v117, v109
	v_add_f32_e32 v109, v117, v109
	v_fmac_f32_e32 v193, 0xbf7e222b, v104
	v_add_f32_e32 v184, v184, v187
	v_add_f32_e32 v183, v183, v186
	;; [unrolled: 1-line block ×3, first 2 shown]
	v_fmamk_f32 v186, v104, 0xbf52af12, v111
	v_add_f32_e32 v187, v120, v129
	v_mul_f32_e32 v189, 0xbf29c268, v185
	v_fma_f32 v117, 0x3f116cb1, v191, -v188
	v_fmac_f32_e32 v111, 0x3f52af12, v104
	v_sub_f32_e32 v104, v120, v129
	v_mul_f32_e32 v129, 0xbf3f9e67, v109
	v_fmamk_f32 v120, v187, 0xbf3f9e67, v189
	v_add_f32_e32 v100, v117, v100
	v_add_f32_e32 v101, v111, v101
	v_mul_f32_e32 v117, 0x3f7e222b, v185
	v_fmamk_f32 v111, v104, 0x3f29c268, v129
	v_add_f32_e32 v124, v186, v124
	v_add_f32_e32 v105, v120, v105
	v_fma_f32 v120, 0xbf3f9e67, v187, -v189
	v_fmac_f32_e32 v129, 0xbf29c268, v104
	v_mul_f32_e32 v186, 0x3df6dbef, v109
	v_add_f32_e32 v106, v111, v106
	v_fmamk_f32 v111, v187, 0x3df6dbef, v117
	v_add_f32_e32 v120, v120, v123
	v_add_f32_e32 v121, v129, v121
	v_fmamk_f32 v123, v104, 0xbf7e222b, v186
	v_mul_f32_e32 v129, 0xbf52af12, v185
	v_add_f32_e32 v107, v111, v107
	v_fma_f32 v111, 0x3df6dbef, v187, -v117
	v_fmac_f32_e32 v186, 0x3f7e222b, v104
	v_add_f32_e32 v117, v123, v118
	v_fmamk_f32 v118, v187, 0x3f116cb1, v129
	v_mul_f32_e32 v123, 0x3f116cb1, v109
	v_add_f32_e32 v108, v111, v108
	v_mul_f32_e32 v111, 0x3e750f2a, v185
	v_add_f32_e32 v110, v186, v110
	v_add_f32_e32 v118, v118, v119
	v_fmamk_f32 v119, v104, 0x3f52af12, v123
	v_fma_f32 v129, 0x3f116cb1, v187, -v129
	v_fmac_f32_e32 v123, 0xbf52af12, v104
	v_fmamk_f32 v186, v187, 0xbf788fa5, v111
	v_mul_f32_e32 v188, 0xbf788fa5, v109
	v_add_f32_e32 v119, v119, v125
	v_add_f32_e32 v125, v129, v127
	;; [unrolled: 1-line block ×4, first 2 shown]
	v_fmamk_f32 v127, v104, 0xbe750f2a, v188
	v_mul_f32_e32 v128, 0x3eedf032, v185
	v_fma_f32 v111, 0xbf788fa5, v187, -v111
	v_mul_f32_e32 v129, 0x3f62ad3f, v109
	v_add_f32_e32 v192, v203, v192
	v_add_f32_e32 v127, v127, v173
	v_fmamk_f32 v173, v187, 0x3f62ad3f, v128
	v_add_f32_e32 v186, v111, v115
	v_fmamk_f32 v111, v104, 0xbeedf032, v129
	v_mul_f32_e32 v115, 0xbf6f5d39, v185
	v_fma_f32 v128, 0x3f62ad3f, v187, -v128
	v_add_f32_e32 v192, v196, v192
	v_fmac_f32_e32 v129, 0x3eedf032, v104
	v_add_f32_e32 v126, v111, v126
	v_fmamk_f32 v111, v187, 0xbeb58ec6, v115
	v_mul_f32_e32 v109, 0xbeb58ec6, v109
	v_add_f32_e32 v128, v128, v182
	v_sub_f32_e32 v182, v113, v114
	v_add_f32_e32 v185, v113, v114
	v_add_f32_e32 v190, v193, v192
	v_fmac_f32_e32 v188, 0x3e750f2a, v104
	v_add_f32_e32 v173, v173, v184
	v_add_f32_e32 v129, v129, v183
	;; [unrolled: 1-line block ×3, first 2 shown]
	v_fmamk_f32 v111, v104, 0x3f6f5d39, v109
	v_add_f32_e32 v183, v116, v112
	v_mul_f32_e32 v184, 0xbe750f2a, v182
	v_fma_f32 v113, 0xbeb58ec6, v187, -v115
	v_fmac_f32_e32 v109, 0xbf6f5d39, v104
	v_sub_f32_e32 v187, v116, v112
	v_mul_f32_e32 v112, 0xbf788fa5, v185
	v_add_f32_e32 v188, v188, v190
	v_fmamk_f32 v104, v183, 0xbf788fa5, v184
	v_add_f32_e32 v124, v111, v124
	v_add_f32_e32 v190, v109, v101
	v_fmamk_f32 v101, v187, 0x3e750f2a, v112
	v_mul_f32_e32 v109, 0x3eedf032, v182
	v_fmac_f32_e32 v112, 0xbe750f2a, v187
	v_mul_f32_e32 v111, 0x3f62ad3f, v185
	v_add_f32_e32 v189, v113, v100
	v_add_f32_e32 v100, v104, v105
	;; [unrolled: 1-line block ×3, first 2 shown]
	v_fmamk_f32 v106, v183, 0x3f62ad3f, v109
	v_add_f32_e32 v105, v112, v121
	v_fmamk_f32 v112, v187, 0xbeedf032, v111
	v_mul_f32_e32 v113, 0xbf29c268, v182
	v_fma_f32 v109, 0x3f62ad3f, v183, -v109
	v_fmac_f32_e32 v111, 0x3eedf032, v187
	v_mul_f32_e32 v114, 0xbf3f9e67, v185
	v_mul_f32_e32 v115, 0x3f52af12, v182
	v_add_f32_e32 v106, v106, v107
	v_add_f32_e32 v107, v112, v117
	v_fmamk_f32 v112, v183, 0xbf3f9e67, v113
	v_add_f32_e32 v108, v109, v108
	v_add_f32_e32 v109, v111, v110
	v_fmamk_f32 v111, v187, 0x3f29c268, v114
	v_fmac_f32_e32 v114, 0xbf29c268, v187
	v_fmamk_f32 v116, v183, 0x3f116cb1, v115
	v_mul_f32_e32 v117, 0x3f116cb1, v185
	v_fma_f32 v104, 0xbf788fa5, v183, -v184
	v_add_f32_e32 v110, v112, v118
	v_fma_f32 v112, 0xbf3f9e67, v183, -v113
	v_add_f32_e32 v111, v111, v119
	v_add_f32_e32 v113, v114, v122
	;; [unrolled: 1-line block ×3, first 2 shown]
	v_fmamk_f32 v116, v187, 0xbf52af12, v117
	v_mul_f32_e32 v118, 0xbf6f5d39, v182
	v_fma_f32 v119, 0x3f116cb1, v183, -v115
	v_mul_f32_e32 v121, 0xbeb58ec6, v185
	v_add_f32_e32 v104, v104, v120
	v_add_f32_e32 v112, v112, v125
	;; [unrolled: 1-line block ×3, first 2 shown]
	v_fmamk_f32 v120, v183, 0xbeb58ec6, v118
	v_add_f32_e32 v116, v119, v186
	v_fmamk_f32 v119, v187, 0x3f6f5d39, v121
	v_fma_f32 v122, 0xbeb58ec6, v183, -v118
	v_mul_f32_e32 v123, 0x3f7e222b, v182
	v_mul_f32_e32 v125, 0x3df6dbef, v185
	v_add_f32_e32 v118, v120, v173
	v_add_f32_e32 v119, v119, v126
	;; [unrolled: 1-line block ×3, first 2 shown]
	v_fmamk_f32 v122, v183, 0x3df6dbef, v123
	v_fmamk_f32 v126, v187, 0xbf7e222b, v125
	v_fma_f32 v127, 0x3df6dbef, v183, -v123
	v_fmac_f32_e32 v125, 0x3f7e222b, v187
	v_fmac_f32_e32 v117, 0x3f52af12, v187
	;; [unrolled: 1-line block ×3, first 2 shown]
	v_add_f32_e32 v122, v122, v174
	v_add_f32_e32 v123, v126, v124
	;; [unrolled: 1-line block ×6, first 2 shown]
	s_barrier
	buffer_gl0_inv
	ds_write2_b64 v201, v[102:103], v[100:101] offset1:4
	ds_write2_b64 v201, v[106:107], v[110:111] offset0:8 offset1:12
	ds_write2_b64 v201, v[114:115], v[118:119] offset0:16 offset1:20
	ds_write2_b64 v201, v[122:123], v[124:125] offset0:24 offset1:28
	ds_write2_b64 v201, v[120:121], v[116:117] offset0:32 offset1:36
	ds_write2_b64 v201, v[112:113], v[108:109] offset0:40 offset1:44
	ds_write_b64 v201, v[104:105] offset:384
	s_and_saveexec_b32 s1, s0
	s_cbranch_execz .LBB0_29
; %bb.28:
	v_mul_f32_e32 v101, v13, v87
	v_mul_f32_e32 v100, v23, v176
	v_mul_f32_e32 v102, v23, v175
	v_mul_f32_e32 v13, v13, v86
	v_mul_f32_e32 v23, v21, v43
	v_fmac_f32_e32 v101, v12, v86
	v_fmac_f32_e32 v100, v22, v175
	v_mul_f32_e32 v86, v15, v97
	v_fma_f32 v22, v22, v176, -v102
	v_fma_f32 v87, v12, v87, -v13
	v_mul_f32_e32 v102, v21, v42
	v_sub_f32_e32 v13, v101, v100
	v_fmac_f32_e32 v86, v14, v96
	v_fmac_f32_e32 v23, v20, v42
	v_mul_f32_e32 v15, v15, v96
	v_add_f32_e32 v42, v22, v87
	v_mul_f32_e32 v103, 0xbe750f2a, v13
	v_mul_f32_e32 v96, v9, v99
	v_mul_f32_e32 v21, v19, v41
	v_sub_f32_e32 v12, v86, v23
	v_fma_f32 v20, v20, v43, -v102
	v_fma_f32 v43, v14, v97, -v15
	v_mul_f32_e32 v15, v9, v98
	v_fmamk_f32 v104, v42, 0xbf788fa5, v103
	v_fmac_f32_e32 v96, v8, v98
	v_fmac_f32_e32 v21, v18, v40
	v_mul_f32_e32 v14, v19, v40
	v_mul_f32_e32 v19, 0x3eedf032, v12
	v_add_f32_e32 v40, v20, v43
	v_fma_f32 v97, v8, v99, -v15
	v_mul_f32_e32 v99, v11, v93
	v_mul_f32_e32 v102, v17, v39
	v_sub_f32_e32 v9, v96, v21
	v_fma_f32 v18, v18, v41, -v14
	v_add_f32_e32 v8, v85, v104
	v_fmamk_f32 v14, v40, 0x3f62ad3f, v19
	v_fmac_f32_e32 v99, v10, v92
	v_fmac_f32_e32 v102, v16, v38
	v_mul_f32_e32 v17, v17, v38
	v_mul_f32_e32 v11, v11, v92
	;; [unrolled: 1-line block ×5, first 2 shown]
	v_add_f32_e32 v98, v18, v97
	v_add_f32_e32 v14, v14, v8
	v_sub_f32_e32 v8, v99, v102
	v_fma_f32 v105, v16, v39, -v17
	v_fma_f32 v93, v10, v93, -v11
	v_fmac_f32_e32 v92, v0, v94
	v_fmac_f32_e32 v104, v6, v36
	v_mul_f32_e32 v10, v7, v36
	v_mul_f32_e32 v1, v1, v94
	v_fmamk_f32 v15, v98, 0xbf3f9e67, v41
	v_mul_f32_e32 v36, 0x3f52af12, v8
	v_add_f32_e32 v94, v105, v93
	v_sub_f32_e32 v7, v92, v104
	v_fma_f32 v106, v6, v37, -v10
	v_fma_f32 v95, v0, v95, -v1
	v_add_f32_e32 v0, v15, v14
	v_fmamk_f32 v1, v94, 0x3f116cb1, v36
	v_mul_f32_e32 v37, 0xbf6f5d39, v7
	v_mul_f32_e32 v108, v3, v89
	v_add_f32_e32 v107, v106, v95
	v_mul_f32_e32 v109, v5, v91
	v_add_f32_e32 v0, v1, v0
	v_sub_f32_e32 v110, v87, v22
	v_fmac_f32_e32 v108, v2, v88
	v_fmamk_f32 v1, v107, 0xbeb58ec6, v37
	v_fmac_f32_e32 v109, v4, v90
	v_add_f32_e32 v10, v100, v101
	v_mul_f32_e32 v38, 0xbe750f2a, v110
	v_sub_f32_e32 v111, v43, v20
	v_add_f32_e32 v0, v1, v0
	v_mul_f32_e32 v1, v5, v90
	v_mul_f32_e32 v3, v3, v88
	v_sub_f32_e32 v6, v108, v109
	v_fma_f32 v5, 0xbf788fa5, v10, -v38
	v_add_f32_e32 v11, v23, v86
	v_mul_f32_e32 v39, 0x3eedf032, v111
	v_fma_f32 v88, v4, v91, -v1
	v_sub_f32_e32 v90, v97, v18
	v_fma_f32 v89, v2, v89, -v3
	v_add_f32_e32 v1, v84, v5
	v_fma_f32 v2, 0x3f62ad3f, v11, -v39
	v_add_f32_e32 v14, v21, v96
	v_mul_f32_e32 v3, 0xbf29c268, v90
	v_mul_f32_e32 v4, 0x3f7e222b, v6
	v_sub_f32_e32 v91, v93, v105
	v_add_f32_e32 v112, v88, v89
	v_add_f32_e32 v1, v2, v1
	v_fma_f32 v2, 0xbf3f9e67, v14, -v3
	v_add_f32_e32 v15, v102, v99
	v_mul_f32_e32 v5, 0x3f52af12, v91
	v_fmamk_f32 v17, v112, 0x3df6dbef, v4
	v_sub_f32_e32 v113, v95, v106
	v_fma_f32 v103, 0xbf788fa5, v42, -v103
	v_add_f32_e32 v2, v2, v1
	v_fma_f32 v114, 0x3f116cb1, v15, -v5
	v_add_f32_e32 v16, v104, v92
	v_mul_f32_e32 v115, 0xbf6f5d39, v113
	v_add_f32_e32 v1, v17, v0
	v_add_f32_e32 v0, v85, v103
	v_fma_f32 v17, 0x3f62ad3f, v40, -v19
	v_sub_f32_e32 v103, v89, v88
	v_fmac_f32_e32 v38, 0xbf788fa5, v10
	v_add_f32_e32 v2, v114, v2
	v_fma_f32 v19, 0xbeb58ec6, v16, -v115
	v_add_f32_e32 v0, v17, v0
	v_fma_f32 v41, 0xbf3f9e67, v98, -v41
	v_add_f32_e32 v17, v109, v108
	v_mul_f32_e32 v114, 0x3f7e222b, v103
	v_add_f32_e32 v38, v84, v38
	v_fmac_f32_e32 v39, 0x3f62ad3f, v11
	v_add_f32_e32 v0, v41, v0
	v_fma_f32 v36, 0x3f116cb1, v94, -v36
	v_add_f32_e32 v2, v19, v2
	v_fma_f32 v19, 0x3df6dbef, v17, -v114
	v_add_f32_e32 v38, v39, v38
	v_fmac_f32_e32 v3, 0xbf3f9e67, v14
	v_add_f32_e32 v36, v36, v0
	v_mul_f32_e32 v116, 0xbf3f9e67, v42
	v_add_f32_e32 v0, v19, v2
	v_fmac_f32_e32 v5, 0x3f116cb1, v15
	v_add_f32_e32 v2, v3, v38
	v_fma_f32 v37, 0xbeb58ec6, v107, -v37
	v_fmamk_f32 v19, v13, 0x3f29c268, v116
	v_mul_f32_e32 v117, 0x3df6dbef, v40
	v_fmac_f32_e32 v115, 0xbeb58ec6, v16
	v_add_f32_e32 v2, v5, v2
	v_add_f32_e32 v3, v37, v36
	v_fma_f32 v4, 0x3df6dbef, v112, -v4
	v_add_f32_e32 v5, v85, v19
	v_fmamk_f32 v19, v12, 0xbf7e222b, v117
	v_mul_f32_e32 v118, 0x3f116cb1, v98
	v_add_f32_e32 v2, v115, v2
	v_mul_f32_e32 v115, 0xbf29c268, v110
	v_add_f32_e32 v3, v4, v3
	v_add_f32_e32 v4, v19, v5
	v_fmamk_f32 v5, v9, 0x3f52af12, v118
	v_mul_f32_e32 v119, 0xbf788fa5, v94
	v_fmamk_f32 v19, v10, 0xbf3f9e67, v115
	v_mul_f32_e32 v120, 0x3f7e222b, v111
	v_fmac_f32_e32 v114, 0x3df6dbef, v17
	v_add_f32_e32 v4, v5, v4
	v_fmamk_f32 v5, v8, 0xbe750f2a, v119
	v_mul_f32_e32 v121, 0x3f62ad3f, v107
	v_add_f32_e32 v19, v84, v19
	v_fmamk_f32 v36, v11, 0x3df6dbef, v120
	v_mul_f32_e32 v122, 0xbf52af12, v90
	v_add_f32_e32 v4, v5, v4
	v_fmamk_f32 v5, v7, 0xbeedf032, v121
	v_add_f32_e32 v2, v114, v2
	v_add_f32_e32 v19, v36, v19
	v_fmamk_f32 v36, v14, 0x3f116cb1, v122
	v_mul_f32_e32 v114, 0x3e750f2a, v91
	v_mul_f32_e32 v123, 0xbeb58ec6, v112
	v_mul_f32_e32 v124, 0xbeb58ec6, v42
	v_add_f32_e32 v4, v5, v4
	v_add_f32_e32 v5, v36, v19
	v_fmamk_f32 v19, v15, 0xbf788fa5, v114
	v_mul_f32_e32 v125, 0x3eedf032, v113
	v_fmamk_f32 v36, v6, 0x3f6f5d39, v123
	v_fmamk_f32 v37, v13, 0x3f6f5d39, v124
	v_mul_f32_e32 v126, 0xbf3f9e67, v40
	v_add_f32_e32 v19, v19, v5
	v_fmamk_f32 v38, v16, 0x3f62ad3f, v125
	v_add_f32_e32 v5, v36, v4
	v_add_f32_e32 v4, v85, v37
	v_fmamk_f32 v36, v12, 0xbf29c268, v126
	v_mul_f32_e32 v127, 0x3f62ad3f, v98
	v_mul_f32_e32 v129, 0xbf6f5d39, v110
	v_add_f32_e32 v19, v38, v19
	v_mul_f32_e32 v128, 0xbf6f5d39, v103
	v_add_f32_e32 v4, v36, v4
	v_fmamk_f32 v36, v9, 0xbeedf032, v127
	v_mul_f32_e32 v173, 0x3df6dbef, v94
	v_fmamk_f32 v38, v10, 0xbeb58ec6, v129
	v_mul_f32_e32 v174, 0x3f29c268, v111
	v_fmamk_f32 v37, v17, 0xbeb58ec6, v128
	v_add_f32_e32 v4, v36, v4
	v_fmamk_f32 v36, v8, 0x3f7e222b, v173
	v_mul_f32_e32 v175, 0xbf788fa5, v107
	v_add_f32_e32 v38, v84, v38
	v_fmamk_f32 v39, v11, 0xbf3f9e67, v174
	v_mul_f32_e32 v176, 0x3eedf032, v90
	v_add_f32_e32 v36, v36, v4
	v_fmamk_f32 v41, v7, 0xbe750f2a, v175
	v_add_f32_e32 v4, v37, v19
	v_add_f32_e32 v19, v39, v38
	v_fmamk_f32 v37, v14, 0x3f62ad3f, v176
	v_mul_f32_e32 v182, 0xbf7e222b, v91
	v_mul_f32_e32 v183, 0x3f116cb1, v112
	;; [unrolled: 1-line block ×3, first 2 shown]
	v_add_f32_e32 v36, v41, v36
	v_add_f32_e32 v19, v37, v19
	v_fmamk_f32 v37, v15, 0x3df6dbef, v182
	v_fmamk_f32 v38, v6, 0xbf52af12, v183
	;; [unrolled: 1-line block ×3, first 2 shown]
	v_mul_f32_e32 v186, 0xbf788fa5, v40
	v_mul_f32_e32 v185, 0x3e750f2a, v113
	v_add_f32_e32 v19, v37, v19
	v_add_f32_e32 v37, v38, v36
	;; [unrolled: 1-line block ×3, first 2 shown]
	v_fmamk_f32 v38, v12, 0x3e750f2a, v186
	v_mul_f32_e32 v187, 0xbeb58ec6, v98
	v_fmamk_f32 v41, v16, 0xbf788fa5, v185
	v_mul_f32_e32 v189, 0xbf7e222b, v110
	v_mul_f32_e32 v190, 0x3f62ad3f, v94
	v_add_f32_e32 v36, v38, v36
	v_fmamk_f32 v38, v9, 0xbf6f5d39, v187
	v_add_f32_e32 v19, v41, v19
	v_mul_f32_e32 v188, 0x3f52af12, v103
	v_fmamk_f32 v41, v10, 0x3df6dbef, v189
	v_mul_f32_e32 v191, 0xbe750f2a, v111
	v_add_f32_e32 v36, v38, v36
	v_fmamk_f32 v38, v8, 0xbeedf032, v190
	v_mul_f32_e32 v192, 0x3f116cb1, v107
	v_fmamk_f32 v39, v17, 0x3f116cb1, v188
	v_add_f32_e32 v41, v84, v41
	v_fmamk_f32 v193, v11, 0xbf788fa5, v191
	v_mul_f32_e32 v194, 0x3f6f5d39, v90
	v_add_f32_e32 v38, v38, v36
	v_fmamk_f32 v195, v7, 0x3f52af12, v192
	v_add_f32_e32 v36, v39, v19
	v_add_f32_e32 v19, v193, v41
	v_fmamk_f32 v39, v14, 0xbeb58ec6, v194
	v_mul_f32_e32 v193, 0x3eedf032, v91
	v_add_f32_e32 v38, v195, v38
	v_mul_f32_e32 v195, 0xbf3f9e67, v112
	v_mul_f32_e32 v196, 0x3f116cb1, v42
	v_add_f32_e32 v19, v39, v19
	v_fmamk_f32 v39, v15, 0x3f62ad3f, v193
	v_mul_f32_e32 v197, 0xbf52af12, v113
	v_fmamk_f32 v41, v6, 0x3f29c268, v195
	v_fmamk_f32 v198, v13, 0x3f52af12, v196
	v_mul_f32_e32 v199, 0xbeb58ec6, v40
	v_add_f32_e32 v19, v39, v19
	v_fmamk_f32 v201, v16, 0x3f116cb1, v197
	v_add_f32_e32 v39, v41, v38
	v_add_f32_e32 v38, v85, v198
	v_fmamk_f32 v41, v12, 0x3f6f5d39, v199
	v_mul_f32_e32 v198, 0xbf788fa5, v98
	v_mul_f32_e32 v203, 0xbf52af12, v110
	v_add_f32_e32 v19, v201, v19
	v_mul_f32_e32 v201, 0xbf29c268, v103
	v_add_f32_e32 v38, v41, v38
	v_fmamk_f32 v41, v9, 0x3e750f2a, v198
	v_mul_f32_e32 v204, 0xbf3f9e67, v94
	v_fmamk_f32 v206, v10, 0x3f116cb1, v203
	v_mul_f32_e32 v207, 0xbf6f5d39, v111
	v_fmamk_f32 v205, v17, 0xbf3f9e67, v201
	v_add_f32_e32 v38, v41, v38
	v_fmamk_f32 v41, v8, 0xbf29c268, v204
	v_mul_f32_e32 v208, 0x3df6dbef, v107
	v_add_f32_e32 v206, v84, v206
	v_fmamk_f32 v209, v11, 0xbeb58ec6, v207
	v_mul_f32_e32 v210, 0xbe750f2a, v90
	v_add_f32_e32 v41, v41, v38
	v_fmamk_f32 v211, v7, 0xbf7e222b, v208
	v_add_f32_e32 v38, v205, v19
	v_add_f32_e32 v19, v209, v206
	v_fmamk_f32 v205, v14, 0xbf788fa5, v210
	v_mul_f32_e32 v206, 0x3f29c268, v91
	v_mul_f32_e32 v209, 0x3f62ad3f, v42
	v_add_f32_e32 v41, v211, v41
	v_mul_f32_e32 v211, 0x3f62ad3f, v112
	v_add_f32_e32 v19, v205, v19
	v_fmamk_f32 v42, v15, 0xbf3f9e67, v206
	v_mul_f32_e32 v205, 0x3f7e222b, v113
	v_fmamk_f32 v212, v13, 0x3eedf032, v209
	v_mul_f32_e32 v213, 0x3f116cb1, v40
	v_fmamk_f32 v40, v6, 0xbeedf032, v211
	v_add_f32_e32 v19, v42, v19
	v_fmamk_f32 v42, v16, 0x3df6dbef, v205
	v_add_f32_e32 v212, v85, v212
	v_fmamk_f32 v214, v12, 0x3f52af12, v213
	v_mul_f32_e32 v98, 0x3df6dbef, v98
	v_mul_f32_e32 v215, 0x3eedf032, v103
	v_add_f32_e32 v41, v40, v41
	v_add_f32_e32 v19, v42, v19
	;; [unrolled: 1-line block ×3, first 2 shown]
	v_fmamk_f32 v42, v9, 0x3f7e222b, v98
	v_fmamk_f32 v212, v17, 0x3f62ad3f, v215
	v_add_f32_e32 v87, v87, v85
	v_add_f32_e32 v101, v84, v101
	v_mul_f32_e32 v94, 0xbeb58ec6, v94
	v_add_f32_e32 v42, v42, v40
	v_add_f32_e32 v40, v212, v19
	;; [unrolled: 1-line block ×4, first 2 shown]
	v_fmamk_f32 v214, v8, 0x3f6f5d39, v94
	v_mul_f32_e32 v101, 0xbeedf032, v110
	v_mul_f32_e32 v107, 0xbf3f9e67, v107
	v_add_f32_e32 v19, v97, v19
	v_add_f32_e32 v43, v96, v43
	v_add_f32_e32 v42, v214, v42
	v_fmamk_f32 v86, v10, 0x3f62ad3f, v101
	v_mul_f32_e32 v96, 0xbf52af12, v111
	v_add_f32_e32 v19, v93, v19
	v_add_f32_e32 v43, v99, v43
	v_fmamk_f32 v87, v7, 0x3f29c268, v107
	v_fmac_f32_e32 v116, 0xbf29c268, v13
	v_add_f32_e32 v86, v84, v86
	v_add_f32_e32 v19, v95, v19
	;; [unrolled: 1-line block ×3, first 2 shown]
	v_fmamk_f32 v93, v11, 0x3f116cb1, v96
	v_mul_f32_e32 v90, 0xbf7e222b, v90
	v_add_f32_e32 v42, v87, v42
	v_add_f32_e32 v19, v89, v19
	;; [unrolled: 1-line block ×3, first 2 shown]
	v_mul_f32_e32 v89, 0xbf6f5d39, v91
	v_mul_f32_e32 v91, 0xbf788fa5, v112
	v_fmac_f32_e32 v117, 0x3f7e222b, v12
	v_add_f32_e32 v19, v88, v19
	v_add_f32_e32 v43, v109, v43
	;; [unrolled: 1-line block ×3, first 2 shown]
	v_fmamk_f32 v92, v6, 0x3e750f2a, v91
	v_fmamk_f32 v87, v14, 0x3df6dbef, v90
	v_add_f32_e32 v19, v106, v19
	v_add_f32_e32 v43, v104, v43
	v_fmac_f32_e32 v118, 0xbf52af12, v9
	v_mul_f32_e32 v88, 0xbf29c268, v113
	v_add_f32_e32 v86, v87, v86
	v_add_f32_e32 v19, v105, v19
	;; [unrolled: 1-line block ×3, first 2 shown]
	v_fmamk_f32 v87, v15, 0xbeb58ec6, v89
	v_mul_f32_e32 v93, 0xbe750f2a, v103
	v_fmac_f32_e32 v184, 0xbf7e222b, v13
	v_add_f32_e32 v18, v18, v19
	v_add_f32_e32 v21, v21, v43
	;; [unrolled: 1-line block ×8, first 2 shown]
	v_fmamk_f32 v87, v16, 0xbf3f9e67, v88
	v_add_f32_e32 v92, v85, v184
	v_add_f32_e32 v21, v22, v20
	v_fma_f32 v22, 0xbf3f9e67, v10, -v115
	v_add_f32_e32 v20, v100, v23
	v_add_f32_e32 v23, v118, v42
	v_fma_f32 v42, 0x3df6dbef, v11, -v120
	v_add_f32_e32 v86, v87, v86
	v_add_f32_e32 v22, v84, v22
	v_fmamk_f32 v87, v17, 0xbf788fa5, v93
	v_fmac_f32_e32 v186, 0xbe750f2a, v12
	v_fma_f32 v95, 0xbf788fa5, v11, -v191
	v_fmac_f32_e32 v187, 0x3f6f5d39, v9
	v_add_f32_e32 v22, v42, v22
	v_fma_f32 v42, 0x3f116cb1, v14, -v122
	v_add_f32_e32 v18, v87, v86
	v_fma_f32 v86, 0xbeb58ec6, v10, -v129
	v_fma_f32 v87, 0xbf3f9e67, v11, -v174
	v_add_f32_e32 v92, v186, v92
	v_add_f32_e32 v22, v42, v22
	v_fma_f32 v42, 0xbf788fa5, v15, -v114
	v_add_f32_e32 v86, v84, v86
	v_fmac_f32_e32 v190, 0x3eedf032, v8
	v_add_f32_e32 v92, v187, v92
	v_fma_f32 v97, 0x3f62ad3f, v15, -v193
	v_add_f32_e32 v22, v42, v22
	v_fma_f32 v42, 0x3f62ad3f, v16, -v125
	;; [unrolled: 2-line block ×3, first 2 shown]
	v_fmac_f32_e32 v192, 0xbf52af12, v7
	v_fmac_f32_e32 v195, 0xbf29c268, v6
	v_add_f32_e32 v22, v42, v22
	v_fma_f32 v42, 0xbeb58ec6, v17, -v128
	v_add_f32_e32 v86, v87, v86
	v_fma_f32 v87, 0x3df6dbef, v15, -v182
	v_fma_f32 v99, 0xbf3f9e67, v17, -v201
	;; [unrolled: 1-line block ×3, first 2 shown]
	v_add_f32_e32 v22, v42, v22
	v_fma_f32 v42, 0x3df6dbef, v10, -v189
	v_add_f32_e32 v86, v87, v86
	v_fma_f32 v87, 0xbf788fa5, v16, -v185
	v_fmac_f32_e32 v124, 0xbf6f5d39, v13
	v_fmac_f32_e32 v196, 0xbf52af12, v13
	v_add_f32_e32 v42, v84, v42
	v_fmac_f32_e32 v209, 0xbeedf032, v13
	v_add_f32_e32 v86, v87, v86
	v_fma_f32 v87, 0x3f116cb1, v17, -v188
	v_add_f32_e32 v43, v85, v124
	v_add_f32_e32 v42, v95, v42
	v_fma_f32 v95, 0xbeb58ec6, v14, -v194
	v_fmac_f32_e32 v126, 0x3f29c268, v12
	v_fmac_f32_e32 v199, 0xbf6f5d39, v12
	v_fmac_f32_e32 v213, 0xbf52af12, v12
	v_fma_f32 v12, 0xbf3f9e67, v15, -v206
	v_add_f32_e32 v95, v95, v42
	v_add_f32_e32 v42, v87, v86
	;; [unrolled: 1-line block ×3, first 2 shown]
	v_fma_f32 v92, 0x3f116cb1, v16, -v197
	v_fma_f32 v11, 0x3f116cb1, v11, -v96
	v_add_f32_e32 v87, v97, v95
	v_fma_f32 v97, 0x3f116cb1, v10, -v203
	v_add_f32_e32 v86, v192, v86
	;; [unrolled: 2-line block ×3, first 2 shown]
	v_add_f32_e32 v92, v92, v87
	v_add_f32_e32 v97, v84, v97
	;; [unrolled: 1-line block ×7, first 2 shown]
	v_fma_f32 v97, 0xbf788fa5, v14, -v210
	v_add_f32_e32 v43, v126, v43
	v_fmac_f32_e32 v127, 0x3eedf032, v9
	v_add_f32_e32 v95, v199, v95
	v_fmac_f32_e32 v198, 0xbe750f2a, v9
	v_add_f32_e32 v92, v97, v92
	v_add_f32_e32 v84, v213, v85
	v_fmac_f32_e32 v98, 0xbf7e222b, v9
	v_add_f32_e32 v10, v11, v10
	v_fma_f32 v11, 0x3df6dbef, v14, -v90
	v_add_f32_e32 v9, v12, v92
	v_fma_f32 v12, 0x3df6dbef, v16, -v205
	v_fmac_f32_e32 v119, 0x3e750f2a, v8
	v_add_f32_e32 v43, v127, v43
	v_fmac_f32_e32 v173, 0xbf7e222b, v8
	v_add_f32_e32 v95, v198, v95
	;; [unrolled: 2-line block ×4, first 2 shown]
	v_fma_f32 v10, 0xbeb58ec6, v15, -v89
	v_add_f32_e32 v9, v12, v9
	v_mul_u32_u24_e32 v12, 52, v200
	v_add_f32_e32 v23, v119, v23
	v_fmac_f32_e32 v121, 0x3eedf032, v7
	v_add_f32_e32 v43, v173, v43
	v_fmac_f32_e32 v175, 0x3e750f2a, v7
	;; [unrolled: 2-line block ×4, first 2 shown]
	v_add_f32_e32 v7, v10, v8
	v_fma_f32 v8, 0xbf3f9e67, v16, -v88
	v_or_b32_e32 v12, v12, v181
	v_add_f32_e32 v23, v121, v23
	v_fmac_f32_e32 v123, 0xbf6f5d39, v6
	v_add_f32_e32 v43, v175, v43
	v_fmac_f32_e32 v183, 0x3f52af12, v6
	;; [unrolled: 2-line block ×3, first 2 shown]
	v_fma_f32 v10, 0x3f62ad3f, v17, -v215
	v_add_f32_e32 v11, v107, v11
	v_fmac_f32_e32 v91, 0xbe750f2a, v6
	v_add_f32_e32 v8, v8, v7
	v_fma_f32 v14, 0xbf788fa5, v17, -v93
	v_lshlrev_b32_e32 v12, 3, v12
	v_add_f32_e32 v23, v123, v23
	v_add_f32_e32 v43, v183, v43
	;; [unrolled: 1-line block ×6, first 2 shown]
	ds_write2_b64 v12, v[20:21], v[18:19] offset1:4
	ds_write2_b64 v12, v[40:41], v[38:39] offset0:8 offset1:12
	ds_write2_b64 v12, v[36:37], v[4:5] offset0:16 offset1:20
	;; [unrolled: 1-line block ×5, first 2 shown]
	ds_write_b64 v12, v[8:9] offset:384
.LBB0_29:
	s_or_b32 exec_lo, exec_lo, s1
	s_waitcnt lgkmcnt(0)
	s_barrier
	buffer_gl0_inv
	ds_read2_b64 v[5:8], v179 offset0:104 offset1:156
	v_add_nc_u32_e32 v1, 0x800, v179
	ds_read2_b64 v[9:12], v1 offset0:56 offset1:108
	ds_read2_b64 v[13:16], v1 offset0:160 offset1:212
	v_add_nc_u32_e32 v4, 0x1000, v179
	v_add_nc_u32_e32 v2, 0x1400, v179
	;; [unrolled: 1-line block ×3, first 2 shown]
	ds_read2_b64 v[17:20], v179 offset1:52
	v_add_nc_u32_e32 v3, 0x400, v179
	ds_read2_b64 v[36:39], v4 offset0:112 offset1:164
	ds_read2_b64 v[40:43], v2 offset0:88 offset1:140
	ds_read_b64 v[21:22], v179 offset:8320
	ds_read2_b64 v[84:87], v0 offset0:168 offset1:220
	ds_read2_b64 v[88:91], v3 offset0:80 offset1:132
	;; [unrolled: 1-line block ×4, first 2 shown]
	s_waitcnt lgkmcnt(0)
	s_barrier
	buffer_gl0_inv
	v_mul_f32_e32 v23, v33, v8
	v_mul_f32_e32 v100, v33, v7
	s_mov_b32 s2, 0x1e01e01e
	s_mov_b32 s3, 0x3f4e01e0
	s_mul_hi_u32 s1, s8, 0x222
	v_fmac_f32_e32 v23, v32, v7
	v_mul_f32_e32 v7, v35, v10
	v_mul_f32_e32 v101, v35, v9
	;; [unrolled: 1-line block ×4, first 2 shown]
	v_fma_f32 v8, v32, v8, -v100
	v_fmac_f32_e32 v7, v34, v9
	v_fma_f32 v9, v34, v10, -v101
	v_fmac_f32_e32 v102, v28, v15
	v_mul_f32_e32 v15, v31, v37
	v_mul_f32_e32 v100, v25, v43
	;; [unrolled: 1-line block ×3, first 2 shown]
	v_fma_f32 v10, v28, v16, -v103
	v_mul_f32_e32 v16, v31, v36
	v_fmac_f32_e32 v15, v30, v36
	v_fmac_f32_e32 v100, v24, v42
	v_fma_f32 v36, v24, v43, -v101
	v_mul_f32_e32 v42, v33, v89
	v_mul_f32_e32 v33, v33, v88
	;; [unrolled: 1-line block ×5, first 2 shown]
	v_fmac_f32_e32 v42, v32, v88
	v_fma_f32 v32, v32, v89, -v33
	v_fmac_f32_e32 v43, v34, v11
	v_fma_f32 v33, v34, v12, -v35
	v_mul_f32_e32 v34, v29, v93
	v_mul_f32_e32 v11, v29, v92
	;; [unrolled: 1-line block ×4, first 2 shown]
	v_fma_f32 v16, v30, v37, -v16
	v_mul_f32_e32 v37, v27, v84
	v_mul_f32_e32 v31, v25, v97
	v_fmac_f32_e32 v34, v28, v92
	v_fma_f32 v28, v28, v93, -v11
	v_fmac_f32_e32 v29, v30, v38
	v_fma_f32 v30, v30, v39, -v12
	v_mul_f32_e32 v11, v25, v96
	v_mul_f32_e32 v25, v27, v87
	;; [unrolled: 1-line block ×5, first 2 shown]
	v_fmac_f32_e32 v103, v26, v84
	v_fma_f32 v37, v26, v85, -v37
	v_fmac_f32_e32 v31, v24, v96
	v_fma_f32 v24, v24, v97, -v11
	;; [unrolled: 2-line block ×4, first 2 shown]
	v_mul_f32_e32 v39, v47, v14
	v_mul_f32_e32 v11, v47, v13
	;; [unrolled: 1-line block ×5, first 2 shown]
	v_fmac_f32_e32 v39, v46, v13
	v_fma_f32 v46, v46, v14, -v11
	v_fmac_f32_e32 v44, v48, v94
	v_fma_f32 v47, v48, v95, -v12
	v_mul_f32_e32 v11, v51, v40
	v_mul_f32_e32 v12, v53, v98
	;; [unrolled: 1-line block ×4, first 2 shown]
	v_add_f32_e32 v14, v7, v100
	v_fma_f32 v41, v50, v41, -v11
	v_fma_f32 v49, v52, v99, -v12
	v_fmac_f32_e32 v48, v54, v21
	v_add_f32_e32 v11, v23, v103
	v_add_f32_e32 v12, v8, v37
	;; [unrolled: 1-line block ×3, first 2 shown]
	v_fmac_f32_e32 v45, v50, v40
	v_mul_f32_e32 v40, v53, v99
	v_fma_f32 v50, v54, v22, -v13
	v_sub_f32_e32 v13, v23, v103
	v_sub_f32_e32 v7, v7, v100
	;; [unrolled: 1-line block ×3, first 2 shown]
	v_add_f32_e32 v22, v102, v15
	v_add_f32_e32 v23, v10, v16
	v_sub_f32_e32 v15, v15, v102
	v_sub_f32_e32 v10, v16, v10
	v_add_f32_e32 v16, v14, v11
	v_add_f32_e32 v27, v21, v12
	v_fmac_f32_e32 v40, v52, v98
	v_sub_f32_e32 v8, v8, v37
	v_sub_f32_e32 v36, v14, v11
	;; [unrolled: 1-line block ×7, first 2 shown]
	v_add_f32_e32 v52, v10, v9
	v_sub_f32_e32 v53, v15, v7
	v_add_f32_e32 v16, v22, v16
	v_add_f32_e32 v22, v23, v27
	;; [unrolled: 1-line block ×3, first 2 shown]
	v_sub_f32_e32 v54, v10, v9
	v_sub_f32_e32 v15, v13, v15
	;; [unrolled: 1-line block ×5, first 2 shown]
	v_add_f32_e32 v23, v52, v8
	v_add_f32_e32 v7, v17, v16
	v_add_f32_e32 v8, v18, v22
	v_mul_f32_e32 v11, 0x3f4a47b2, v11
	v_mul_f32_e32 v12, 0x3f4a47b2, v12
	;; [unrolled: 1-line block ×5, first 2 shown]
	v_add_f32_e32 v13, v51, v13
	v_mul_f32_e32 v51, 0x3f08b237, v54
	v_mul_f32_e32 v52, 0xbf5ff5aa, v55
	v_mul_f32_e32 v53, 0xbf5ff5aa, v9
	v_fmamk_f32 v16, v16, 0xbf955555, v7
	v_fmamk_f32 v22, v22, 0xbf955555, v8
	;; [unrolled: 1-line block ×4, first 2 shown]
	v_fma_f32 v17, 0x3f3bfb3b, v36, -v17
	v_fma_f32 v18, 0x3f3bfb3b, v37, -v18
	;; [unrolled: 1-line block ×3, first 2 shown]
	v_fmamk_f32 v36, v15, 0xbeae86e6, v27
	v_fma_f32 v27, 0xbf5ff5aa, v55, -v27
	v_fma_f32 v12, 0xbf3bfb3b, v37, -v12
	v_fmamk_f32 v37, v10, 0xbeae86e6, v51
	v_fma_f32 v51, 0xbf5ff5aa, v9, -v51
	v_fma_f32 v52, 0x3eae86e6, v15, -v52
	;; [unrolled: 1-line block ×3, first 2 shown]
	v_add_f32_e32 v55, v21, v22
	v_add_f32_e32 v15, v17, v16
	;; [unrolled: 1-line block ×3, first 2 shown]
	v_fmac_f32_e32 v36, 0xbee1c552, v13
	v_fmac_f32_e32 v27, 0xbee1c552, v13
	v_add_f32_e32 v54, v14, v16
	v_add_f32_e32 v18, v11, v16
	;; [unrolled: 1-line block ×3, first 2 shown]
	v_fmac_f32_e32 v37, 0xbee1c552, v23
	v_fmac_f32_e32 v53, 0xbee1c552, v23
	;; [unrolled: 1-line block ×4, first 2 shown]
	v_sub_f32_e32 v10, v55, v36
	v_add_f32_e32 v14, v27, v17
	v_sub_f32_e32 v16, v17, v27
	v_add_f32_e32 v22, v36, v55
	v_add_f32_e32 v23, v42, v25
	;; [unrolled: 1-line block ×3, first 2 shown]
	v_sub_f32_e32 v26, v32, v26
	v_add_f32_e32 v32, v43, v31
	v_add_f32_e32 v36, v33, v24
	v_add_f32_e32 v9, v37, v54
	v_add_f32_e32 v11, v53, v18
	v_sub_f32_e32 v12, v21, v52
	v_sub_f32_e32 v17, v18, v53
	v_add_f32_e32 v18, v52, v21
	v_sub_f32_e32 v21, v54, v37
	v_sub_f32_e32 v25, v42, v25
	;; [unrolled: 1-line block ×4, first 2 shown]
	v_add_f32_e32 v33, v34, v29
	v_add_f32_e32 v37, v28, v30
	v_sub_f32_e32 v29, v29, v34
	v_sub_f32_e32 v28, v30, v28
	v_add_f32_e32 v30, v32, v23
	v_add_f32_e32 v34, v36, v27
	v_sub_f32_e32 v13, v15, v51
	v_add_f32_e32 v15, v51, v15
	v_sub_f32_e32 v42, v32, v23
	v_sub_f32_e32 v43, v36, v27
	;; [unrolled: 1-line block ×6, first 2 shown]
	v_add_f32_e32 v51, v29, v31
	v_add_f32_e32 v52, v28, v24
	v_sub_f32_e32 v53, v29, v31
	v_sub_f32_e32 v54, v28, v24
	v_sub_f32_e32 v31, v31, v25
	v_add_f32_e32 v30, v33, v30
	v_add_f32_e32 v33, v37, v34
	v_sub_f32_e32 v24, v24, v26
	v_sub_f32_e32 v29, v25, v29
	;; [unrolled: 1-line block ×3, first 2 shown]
	v_add_f32_e32 v25, v51, v25
	v_add_f32_e32 v26, v52, v26
	;; [unrolled: 1-line block ×4, first 2 shown]
	v_mul_f32_e32 v23, 0x3f4a47b2, v23
	v_mul_f32_e32 v27, 0x3f4a47b2, v27
	;; [unrolled: 1-line block ×8, first 2 shown]
	v_fmamk_f32 v30, v30, 0xbf955555, v19
	v_fmamk_f32 v33, v33, 0xbf955555, v20
	v_fmamk_f32 v32, v32, 0x3d64c772, v23
	v_fmamk_f32 v36, v36, 0x3d64c772, v27
	v_fma_f32 v34, 0x3f3bfb3b, v42, -v34
	v_fma_f32 v37, 0x3f3bfb3b, v43, -v37
	;; [unrolled: 1-line block ×4, first 2 shown]
	v_fmamk_f32 v42, v29, 0xbeae86e6, v51
	v_fmamk_f32 v43, v28, 0xbeae86e6, v52
	v_fma_f32 v31, 0xbf5ff5aa, v31, -v51
	v_fma_f32 v51, 0xbf5ff5aa, v24, -v52
	;; [unrolled: 1-line block ×4, first 2 shown]
	v_add_f32_e32 v54, v32, v30
	v_add_f32_e32 v36, v36, v33
	;; [unrolled: 1-line block ×6, first 2 shown]
	v_fmac_f32_e32 v42, 0xbee1c552, v25
	v_fmac_f32_e32 v43, 0xbee1c552, v26
	;; [unrolled: 1-line block ×6, first 2 shown]
	v_add_f32_e32 v23, v43, v54
	v_sub_f32_e32 v24, v36, v42
	v_add_f32_e32 v25, v53, v34
	v_sub_f32_e32 v26, v33, v52
	;; [unrolled: 2-line block ×3, first 2 shown]
	v_sub_f32_e32 v31, v34, v53
	v_add_f32_e32 v32, v52, v33
	v_sub_f32_e32 v33, v54, v43
	v_add_f32_e32 v34, v42, v36
	v_add_f32_e32 v36, v35, v48
	;; [unrolled: 1-line block ×5, first 2 shown]
	v_sub_f32_e32 v35, v35, v48
	v_sub_f32_e32 v39, v39, v40
	;; [unrolled: 1-line block ×3, first 2 shown]
	v_add_f32_e32 v46, v44, v45
	v_add_f32_e32 v48, v47, v41
	v_sub_f32_e32 v44, v45, v44
	v_sub_f32_e32 v41, v41, v47
	v_add_f32_e32 v45, v42, v36
	v_add_f32_e32 v47, v43, v37
	v_sub_f32_e32 v38, v38, v50
	v_sub_f32_e32 v27, v29, v51
	v_add_f32_e32 v29, v51, v29
	v_sub_f32_e32 v49, v42, v36
	v_sub_f32_e32 v50, v43, v37
	;; [unrolled: 1-line block ×6, first 2 shown]
	v_add_f32_e32 v51, v44, v39
	v_add_f32_e32 v52, v41, v40
	v_sub_f32_e32 v53, v44, v39
	v_sub_f32_e32 v54, v41, v40
	v_add_f32_e32 v45, v46, v45
	v_add_f32_e32 v46, v48, v47
	v_sub_f32_e32 v39, v39, v35
	v_sub_f32_e32 v40, v40, v38
	;; [unrolled: 1-line block ×4, first 2 shown]
	v_add_f32_e32 v35, v51, v35
	v_add_f32_e32 v38, v52, v38
	;; [unrolled: 1-line block ×4, first 2 shown]
	v_mul_f32_e32 v36, 0x3f4a47b2, v36
	v_mul_f32_e32 v37, 0x3f4a47b2, v37
	;; [unrolled: 1-line block ×8, first 2 shown]
	v_fmamk_f32 v45, v45, 0xbf955555, v5
	v_fmamk_f32 v46, v46, 0xbf955555, v6
	v_fmamk_f32 v42, v42, 0x3d64c772, v36
	v_fmamk_f32 v43, v43, 0x3d64c772, v37
	v_fma_f32 v47, 0x3f3bfb3b, v49, -v47
	v_fma_f32 v48, 0x3f3bfb3b, v50, -v48
	;; [unrolled: 1-line block ×4, first 2 shown]
	v_fmamk_f32 v49, v44, 0xbeae86e6, v51
	v_fmamk_f32 v50, v41, 0xbeae86e6, v52
	v_fma_f32 v51, 0xbf5ff5aa, v39, -v51
	v_fma_f32 v52, 0xbf5ff5aa, v40, -v52
	;; [unrolled: 1-line block ×4, first 2 shown]
	v_add_f32_e32 v54, v42, v45
	v_add_f32_e32 v55, v43, v46
	v_fmac_f32_e32 v49, 0xbee1c552, v35
	v_fmac_f32_e32 v50, 0xbee1c552, v38
	v_add_f32_e32 v41, v47, v45
	v_add_f32_e32 v42, v48, v46
	v_add_f32_e32 v43, v36, v45
	v_add_f32_e32 v45, v37, v46
	v_fmac_f32_e32 v51, 0xbee1c552, v35
	v_fmac_f32_e32 v53, 0xbee1c552, v38
	;; [unrolled: 1-line block ×4, first 2 shown]
	v_add_f32_e32 v35, v50, v54
	v_sub_f32_e32 v36, v55, v49
	ds_write2_b64 v179, v[7:8], v[9:10] offset1:52
	ds_write2_b64 v179, v[11:12], v[13:14] offset0:104 offset1:156
	ds_write2_b64 v3, v[15:16], v[17:18] offset0:80 offset1:132
	;; [unrolled: 1-line block ×3, first 2 shown]
	v_add_nc_u32_e32 v7, 0x1400, v202
	v_add_f32_e32 v37, v53, v43
	v_sub_f32_e32 v38, v45, v44
	v_sub_f32_e32 v39, v41, v52
	v_add_f32_e32 v40, v51, v42
	v_add_nc_u32_e32 v8, 0x1800, v202
	v_add_f32_e32 v41, v52, v41
	v_sub_f32_e32 v42, v42, v51
	v_sub_f32_e32 v43, v43, v53
	v_add_f32_e32 v44, v44, v45
	v_sub_f32_e32 v45, v54, v50
	v_add_f32_e32 v46, v49, v55
	ds_write2_b64 v1, v[23:24], v[25:26] offset0:160 offset1:212
	ds_write2_b64 v4, v[27:28], v[29:30] offset0:8 offset1:60
	;; [unrolled: 1-line block ×6, first 2 shown]
	ds_write_b64 v202, v[45:46] offset:8320
	s_waitcnt lgkmcnt(0)
	s_barrier
	buffer_gl0_inv
	ds_read2_b64 v[5:8], v1 offset0:56 offset1:108
	ds_read2_b64 v[9:12], v2 offset0:88 offset1:140
	;; [unrolled: 1-line block ×3, first 2 shown]
	ds_read2_b64 v[17:20], v179 offset1:52
	ds_read2_b64 v[21:24], v179 offset0:104 offset1:156
	ds_read2_b64 v[25:28], v0 offset0:64 offset1:116
	;; [unrolled: 1-line block ×6, first 2 shown]
	ds_read_b64 v[45:46], v179 offset:8320
	s_waitcnt lgkmcnt(10)
	v_mul_f32_e32 v47, v61, v8
	s_waitcnt lgkmcnt(9)
	v_mul_f32_e32 v49, v63, v10
	v_mul_f32_e32 v48, v61, v7
	;; [unrolled: 1-line block ×3, first 2 shown]
	s_waitcnt lgkmcnt(8)
	v_mul_f32_e32 v51, v69, v16
	v_fmac_f32_e32 v47, v60, v7
	v_mul_f32_e32 v7, v63, v9
	v_fmac_f32_e32 v49, v62, v9
	v_mul_f32_e32 v9, v57, v13
	v_fma_f32 v8, v60, v8, -v48
	v_mul_f32_e32 v48, v57, v14
	v_fma_f32 v10, v62, v10, -v7
	;; [unrolled: 2-line block ×3, first 2 shown]
	v_mul_f32_e32 v9, v69, v15
	s_waitcnt lgkmcnt(4)
	v_mul_f32_e32 v55, v65, v30
	v_mul_f32_e32 v53, v71, v26
	v_fma_f32 v52, v58, v12, -v7
	v_mul_f32_e32 v7, v71, v25
	v_fma_f32 v54, v68, v16, -v9
	v_mul_f32_e32 v9, v65, v29
	v_fmac_f32_e32 v55, v64, v29
	v_fmac_f32_e32 v48, v56, v13
	v_fma_f32 v26, v70, v26, -v7
	v_mul_f32_e32 v7, v67, v27
	v_fma_f32 v29, v64, v30, -v9
	v_mul_f32_e32 v9, v77, v31
	v_mul_f32_e32 v56, v67, v28
	;; [unrolled: 1-line block ×3, first 2 shown]
	v_fma_f32 v28, v66, v28, -v7
	s_waitcnt lgkmcnt(2)
	v_mul_f32_e32 v7, v79, v37
	v_fma_f32 v32, v76, v32, -v9
	s_waitcnt lgkmcnt(1)
	v_mul_f32_e32 v59, v73, v42
	v_mul_f32_e32 v9, v73, v41
	v_fmac_f32_e32 v50, v58, v11
	v_mul_f32_e32 v58, v79, v38
	v_fma_f32 v38, v78, v38, -v7
	v_fmac_f32_e32 v59, v72, v41
	v_mul_f32_e32 v7, v75, v39
	v_fma_f32 v41, v72, v42, -v9
	v_mul_f32_e32 v61, v81, v44
	v_mul_f32_e32 v9, v81, v43
	;; [unrolled: 1-line block ×3, first 2 shown]
	v_fma_f32 v40, v74, v40, -v7
	s_waitcnt lgkmcnt(0)
	v_mul_f32_e32 v7, v83, v45
	v_fmac_f32_e32 v61, v80, v43
	v_fma_f32 v43, v80, v44, -v9
	v_add_f32_e32 v9, v47, v49
	v_add_f32_e32 v11, v17, v47
	v_fma_f32 v44, v82, v46, -v7
	v_add_f32_e32 v12, v8, v10
	v_sub_f32_e32 v13, v8, v10
	v_fma_f32 v7, -0.5, v9, v17
	v_fmac_f32_e32 v51, v68, v15
	v_add_f32_e32 v9, v11, v49
	v_add_f32_e32 v15, v18, v8
	v_fma_f32 v8, -0.5, v12, v18
	v_sub_f32_e32 v16, v47, v49
	v_fmamk_f32 v11, v13, 0xbf5db3d7, v7
	v_fmac_f32_e32 v7, 0x3f5db3d7, v13
	v_add_f32_e32 v13, v48, v50
	v_fmac_f32_e32 v53, v70, v25
	v_add_f32_e32 v10, v15, v10
	v_fmamk_f32 v12, v16, 0x3f5db3d7, v8
	v_add_f32_e32 v15, v19, v48
	v_fmac_f32_e32 v8, 0xbf5db3d7, v16
	v_add_f32_e32 v16, v14, v52
	v_fma_f32 v19, -0.5, v13, v19
	v_sub_f32_e32 v17, v14, v52
	v_add_f32_e32 v13, v15, v50
	v_add_f32_e32 v14, v20, v14
	v_fmac_f32_e32 v20, -0.5, v16
	v_sub_f32_e32 v18, v48, v50
	v_fmamk_f32 v15, v17, 0xbf5db3d7, v19
	v_fmac_f32_e32 v19, 0x3f5db3d7, v17
	v_add_f32_e32 v17, v51, v53
	v_fmac_f32_e32 v56, v66, v27
	v_fmamk_f32 v16, v18, 0x3f5db3d7, v20
	v_add_f32_e32 v25, v21, v51
	v_fmac_f32_e32 v20, 0xbf5db3d7, v18
	v_add_f32_e32 v18, v54, v26
	v_fma_f32 v17, -0.5, v17, v21
	v_sub_f32_e32 v27, v54, v26
	v_fmac_f32_e32 v57, v76, v31
	v_add_f32_e32 v21, v25, v53
	v_add_f32_e32 v30, v22, v54
	v_fma_f32 v18, -0.5, v18, v22
	v_sub_f32_e32 v31, v51, v53
	v_fmamk_f32 v25, v27, 0xbf5db3d7, v17
	v_fmac_f32_e32 v17, 0x3f5db3d7, v27
	v_add_f32_e32 v27, v55, v56
	v_fmac_f32_e32 v58, v78, v37
	v_add_f32_e32 v22, v30, v26
	v_fmamk_f32 v26, v31, 0x3f5db3d7, v18
	v_add_f32_e32 v30, v23, v55
	v_fmac_f32_e32 v18, 0xbf5db3d7, v31
	v_add_f32_e32 v31, v29, v28
	v_fma_f32 v23, -0.5, v27, v23
	v_sub_f32_e32 v37, v29, v28
	v_fmac_f32_e32 v60, v74, v39
	v_mul_f32_e32 v62, v83, v46
	v_add_f32_e32 v27, v30, v56
	v_add_f32_e32 v30, v24, v29
	v_fmac_f32_e32 v24, -0.5, v31
	v_sub_f32_e32 v31, v55, v56
	v_fmamk_f32 v29, v37, 0xbf5db3d7, v23
	v_fmac_f32_e32 v23, 0x3f5db3d7, v37
	v_add_f32_e32 v37, v57, v58
	v_add_f32_e32 v39, v33, v57
	v_fmac_f32_e32 v62, v82, v45
	v_add_f32_e32 v28, v30, v28
	v_fmamk_f32 v30, v31, 0x3f5db3d7, v24
	v_fmac_f32_e32 v24, 0xbf5db3d7, v31
	v_add_f32_e32 v42, v32, v38
	v_fma_f32 v31, -0.5, v37, v33
	v_sub_f32_e32 v45, v32, v38
	v_add_f32_e32 v33, v39, v58
	v_add_f32_e32 v39, v34, v32
	v_fma_f32 v32, -0.5, v42, v34
	v_sub_f32_e32 v42, v57, v58
	v_fmamk_f32 v37, v45, 0xbf5db3d7, v31
	v_fmac_f32_e32 v31, 0x3f5db3d7, v45
	v_add_f32_e32 v34, v39, v38
	v_add_f32_e32 v39, v59, v60
	;; [unrolled: 1-line block ×3, first 2 shown]
	v_fmamk_f32 v38, v42, 0x3f5db3d7, v32
	v_fmac_f32_e32 v32, 0xbf5db3d7, v42
	v_add_f32_e32 v42, v41, v40
	v_fma_f32 v35, -0.5, v39, v35
	v_sub_f32_e32 v46, v41, v40
	v_add_f32_e32 v39, v45, v60
	v_add_f32_e32 v45, v36, v41
	v_fmac_f32_e32 v36, -0.5, v42
	v_sub_f32_e32 v47, v59, v60
	v_fmamk_f32 v41, v46, 0xbf5db3d7, v35
	v_fmac_f32_e32 v35, 0x3f5db3d7, v46
	v_add_f32_e32 v40, v45, v40
	v_add_f32_e32 v45, v61, v62
	;; [unrolled: 1-line block ×3, first 2 shown]
	v_fmamk_f32 v42, v47, 0x3f5db3d7, v36
	v_fmac_f32_e32 v36, 0xbf5db3d7, v47
	v_add_f32_e32 v47, v5, v61
	v_fma_f32 v5, -0.5, v45, v5
	v_sub_f32_e32 v48, v43, v44
	v_add_f32_e32 v49, v6, v43
	v_fmac_f32_e32 v6, -0.5, v46
	v_sub_f32_e32 v50, v61, v62
	v_add_f32_e32 v14, v14, v52
	v_fmamk_f32 v45, v48, 0xbf5db3d7, v5
	v_fmac_f32_e32 v5, 0x3f5db3d7, v48
	v_add_f32_e32 v43, v47, v62
	v_fmamk_f32 v46, v50, 0x3f5db3d7, v6
	v_fmac_f32_e32 v6, 0xbf5db3d7, v50
	v_add_f32_e32 v44, v49, v44
	ds_write_b64 v179, v[11:12] offset:2912
	ds_write_b64 v179, v[7:8] offset:5824
	ds_write2_b64 v179, v[9:10], v[13:14] offset1:52
	ds_write2_b64 v1, v[15:16], v[25:26] offset0:160 offset1:212
	ds_write2_b64 v0, v[19:20], v[17:18] offset0:12 offset1:64
	;; [unrolled: 1-line block ×3, first 2 shown]
	ds_write_b64 v179, v[23:24] offset:7072
	ds_write2_b64 v4, v[29:30], v[37:38] offset0:8 offset1:60
	ds_write2_b64 v3, v[33:34], v[39:40] offset0:80 offset1:132
	;; [unrolled: 1-line block ×3, first 2 shown]
	ds_write_b64 v179, v[43:44] offset:2496
	ds_write2_b64 v4, v[41:42], v[45:46] offset0:112 offset1:164
	ds_write_b64 v179, v[5:6] offset:8320
	s_waitcnt lgkmcnt(0)
	s_barrier
	buffer_gl0_inv
	ds_read2_b64 v[5:8], v179 offset1:52
	ds_read2_b64 v[9:12], v4 offset0:34 offset1:86
	v_mad_u64_u32 v[15:16], null, s10, v156, 0
	s_waitcnt lgkmcnt(1)
	v_mul_f32_e32 v13, v168, v6
	s_waitcnt lgkmcnt(0)
	v_mul_f32_e32 v17, v172, v10
	v_mul_f32_e32 v18, v172, v9
	;; [unrolled: 1-line block ×4, first 2 shown]
	v_fmac_f32_e32 v13, v167, v5
	v_mul_f32_e32 v5, v168, v5
	v_fmac_f32_e32 v17, v171, v9
	v_fma_f32 v19, v171, v10, -v18
	v_mad_u64_u32 v[9:10], null, s8, v180, 0
	v_fma_f32 v5, v167, v6, -v5
	v_cvt_f64_f32_e32 v[17:18], v17
	v_cvt_f64_f32_e32 v[13:14], v13
	v_fmac_f32_e32 v24, v165, v7
	v_cvt_f64_f32_e32 v[19:20], v19
	v_cvt_f64_f32_e32 v[5:6], v5
	v_fmac_f32_e32 v25, v169, v11
	v_cvt_f64_f32_e32 v[25:26], v25
	v_mad_u64_u32 v[21:22], null, s11, v156, v[16:17]
	v_mul_f32_e32 v16, v166, v7
	v_mul_f64 v[13:14], v[13:14], s[2:3]
	v_mul_f64 v[5:6], v[5:6], s[2:3]
	v_mad_u64_u32 v[22:23], null, s9, v180, v[10:11]
	v_fma_f32 v10, v165, v8, -v16
	v_cvt_f64_f32_e32 v[7:8], v24
	v_mov_b32_e32 v16, v21
	v_mul_f64 v[17:18], v[17:18], s[2:3]
	v_mul_f64 v[19:20], v[19:20], s[2:3]
	v_cvt_f64_f32_e32 v[23:24], v10
	v_mov_b32_e32 v10, v22
	v_lshlrev_b64 v[15:16], 3, v[15:16]
	v_lshlrev_b64 v[9:10], 3, v[9:10]
	v_add_co_u32 v15, s0, s6, v15
	v_add_co_ci_u32_e64 v16, s0, s7, v16, s0
	v_add_co_u32 v15, s0, v15, v9
	v_mul_f32_e32 v9, v170, v11
	v_cvt_f32_f64_e32 v13, v[13:14]
	v_cvt_f32_f64_e32 v14, v[5:6]
	v_mul_f64 v[21:22], v[7:8], s[2:3]
	ds_read2_b64 v[5:8], v179 offset0:104 offset1:156
	v_fma_f32 v27, v169, v12, -v9
	v_add_co_ci_u32_e64 v16, s0, v16, v10, s0
	v_mul_f64 v[23:24], v[23:24], s[2:3]
	ds_read2_b64 v[9:12], v4 offset0:138 offset1:190
	v_cvt_f64_f32_e32 v[27:28], v27
	s_mul_i32 s0, s9, 0x222
	v_cvt_f32_f64_e32 v17, v[17:18]
	v_cvt_f32_f64_e32 v18, v[19:20]
	s_add_i32 s1, s1, s0
	s_mul_i32 s0, s8, 0x222
	s_lshl_b64 s[4:5], s[0:1], 3
	s_mul_i32 s1, s9, 0xfffffe12
	v_add_co_u32 v19, s0, v15, s4
	v_add_co_ci_u32_e64 v20, s0, s5, v16, s0
	s_mul_hi_u32 s0, s8, 0xfffffe12
	s_waitcnt lgkmcnt(1)
	v_mul_f32_e32 v4, v158, v6
	v_mul_f32_e32 v29, v158, v5
	v_cvt_f32_f64_e32 v21, v[21:22]
	s_sub_i32 s0, s0, s8
	v_fmac_f32_e32 v4, v157, v5
	v_fma_f32 v5, v157, v6, -v29
	s_waitcnt lgkmcnt(0)
	v_mul_f32_e32 v31, v164, v10
	v_cvt_f32_f64_e32 v22, v[23:24]
	v_mul_f64 v[23:24], v[25:26], s[2:3]
	v_mul_f64 v[25:26], v[27:28], s[2:3]
	v_cvt_f64_f32_e32 v[27:28], v4
	v_cvt_f64_f32_e32 v[29:30], v5
	v_mul_f32_e32 v5, v153, v8
	v_fmac_f32_e32 v31, v163, v9
	v_mul_f32_e32 v4, v164, v9
	v_mul_f32_e32 v6, v153, v7
	;; [unrolled: 1-line block ×4, first 2 shown]
	v_fmac_f32_e32 v5, v152, v7
	v_fma_f32 v4, v163, v10, -v4
	v_fma_f32 v6, v152, v8, -v6
	v_fmac_f32_e32 v9, v161, v11
	v_fma_f32 v7, v161, v12, -v33
	v_cvt_f64_f32_e32 v[31:32], v31
	s_add_i32 s1, s0, s1
	s_mul_i32 s0, s8, 0xfffffe12
	v_cvt_f64_f32_e32 v[33:34], v5
	s_lshl_b64 s[6:7], s[0:1], 3
	v_cvt_f64_f32_e32 v[11:12], v4
	v_cvt_f64_f32_e32 v[35:36], v6
	;; [unrolled: 1-line block ×4, first 2 shown]
	ds_read2_b64 v[3:6], v3 offset0:80 offset1:132
	ds_read2_b64 v[7:10], v2 offset0:114 offset1:166
	v_add_co_u32 v41, s0, v19, s6
	v_add_co_ci_u32_e64 v42, s0, s7, v20, s0
	global_store_dwordx2 v[15:16], v[13:14], off
	v_cvt_f32_f64_e32 v13, v[23:24]
	v_cvt_f32_f64_e32 v14, v[25:26]
	global_store_dwordx2 v[19:20], v[17:18], off
	global_store_dwordx2 v[41:42], v[21:22], off
	v_mul_f64 v[15:16], v[27:28], s[2:3]
	v_mul_f64 v[17:18], v[29:30], s[2:3]
	v_add_co_u32 v19, s0, v41, s4
	v_mul_f64 v[21:22], v[31:32], s[2:3]
	v_add_co_ci_u32_e64 v20, s0, s5, v42, s0
	v_mul_f64 v[23:24], v[33:34], s[2:3]
	v_mul_f64 v[11:12], v[11:12], s[2:3]
	s_waitcnt lgkmcnt(1)
	v_mul_f32_e32 v2, v147, v4
	v_mul_f32_e32 v31, v147, v3
	s_waitcnt lgkmcnt(0)
	v_mul_f32_e32 v32, v155, v8
	v_mul_f32_e32 v33, v155, v7
	v_mul_f64 v[25:26], v[35:36], s[2:3]
	v_fmac_f32_e32 v2, v146, v3
	v_fma_f32 v4, v146, v4, -v31
	v_fmac_f32_e32 v32, v154, v7
	v_fma_f32 v31, v154, v8, -v33
	v_mul_f64 v[27:28], v[37:38], s[2:3]
	v_mul_f64 v[29:30], v[39:40], s[2:3]
	v_cvt_f64_f32_e32 v[2:3], v2
	v_cvt_f64_f32_e32 v[7:8], v4
	global_store_dwordx2 v[19:20], v[13:14], off
	v_cvt_f64_f32_e32 v[13:14], v32
	v_cvt_f32_f64_e32 v15, v[15:16]
	v_cvt_f32_f64_e32 v16, v[17:18]
	v_cvt_f64_f32_e32 v[17:18], v31
	v_mul_f32_e32 v4, v149, v6
	v_mul_f32_e32 v31, v149, v5
	v_cvt_f32_f64_e32 v23, v[23:24]
	v_cvt_f32_f64_e32 v21, v[21:22]
	;; [unrolled: 1-line block ×3, first 2 shown]
	v_add_co_u32 v19, s0, v19, s6
	v_fmac_f32_e32 v4, v148, v5
	v_cvt_f32_f64_e32 v24, v[25:26]
	v_add_co_ci_u32_e64 v20, s0, s7, v20, s0
	v_add_co_u32 v11, s0, v19, s4
	v_cvt_f32_f64_e32 v25, v[27:28]
	v_cvt_f32_f64_e32 v26, v[29:30]
	v_mul_f64 v[27:28], v[2:3], s[2:3]
	v_mul_f64 v[29:30], v[7:8], s[2:3]
	v_fma_f32 v2, v148, v6, -v31
	v_mul_f64 v[13:14], v[13:14], s[2:3]
	v_mul_f32_e32 v6, v160, v10
	v_mul_f32_e32 v3, v160, v9
	v_mul_f64 v[17:18], v[17:18], s[2:3]
	v_cvt_f64_f32_e32 v[31:32], v4
	v_cvt_f64_f32_e32 v[33:34], v2
	v_fmac_f32_e32 v6, v159, v9
	v_fma_f32 v7, v159, v10, -v3
	ds_read2_b64 v[2:5], v1 offset0:56 offset1:108
	v_add_co_ci_u32_e64 v12, s0, s5, v20, s0
	v_add_co_u32 v35, s0, v11, s6
	v_cvt_f64_f32_e32 v[37:38], v6
	v_cvt_f64_f32_e32 v[39:40], v7
	ds_read2_b64 v[6:9], v0 offset0:90 offset1:142
	v_add_co_ci_u32_e64 v36, s0, s7, v12, s0
	v_add_co_u32 v41, s0, v35, s4
	v_cvt_f32_f64_e32 v10, v[27:28]
	v_add_co_ci_u32_e64 v42, s0, s5, v36, s0
	global_store_dwordx2 v[19:20], v[15:16], off
	global_store_dwordx2 v[11:12], v[21:22], off
	;; [unrolled: 1-line block ×4, first 2 shown]
	v_cvt_f32_f64_e32 v11, v[29:30]
	v_cvt_f32_f64_e32 v12, v[13:14]
	;; [unrolled: 1-line block ×3, first 2 shown]
	v_add_co_u32 v18, s0, v41, s6
	s_waitcnt lgkmcnt(1)
	v_mul_f32_e32 v26, v141, v3
	v_add_co_ci_u32_e64 v19, s0, s7, v42, s0
	v_add_co_u32 v24, s0, v18, s4
	v_fmac_f32_e32 v26, v140, v2
	v_mul_f32_e32 v2, v141, v2
	s_waitcnt lgkmcnt(0)
	v_mul_f32_e32 v28, v151, v7
	v_mul_f32_e32 v29, v151, v6
	v_add_co_ci_u32_e64 v25, s0, s5, v19, s0
	v_fma_f32 v2, v140, v3, -v2
	v_fmac_f32_e32 v28, v150, v6
	v_fma_f32 v3, v150, v7, -v29
	v_mul_f64 v[14:15], v[31:32], s[2:3]
	v_mul_f64 v[16:17], v[33:34], s[2:3]
	v_cvt_f64_f32_e32 v[26:27], v26
	global_store_dwordx2 v[18:19], v[10:11], off
	global_store_dwordx2 v[24:25], v[12:13], off
	v_cvt_f64_f32_e32 v[6:7], v2
	v_cvt_f64_f32_e32 v[18:19], v28
	v_cvt_f64_f32_e32 v[28:29], v3
	ds_read2_b64 v[10:13], v1 offset0:160 offset1:212
	ds_read2_b64 v[0:3], v0 offset0:194 offset1:246
	v_mul_f64 v[20:21], v[37:38], s[2:3]
	v_mul_f64 v[22:23], v[39:40], s[2:3]
	v_mul_f32_e32 v30, v133, v5
	v_mul_f32_e32 v31, v133, v4
	v_fmac_f32_e32 v30, v132, v4
	v_fma_f32 v31, v132, v5, -v31
	v_cvt_f32_f64_e32 v14, v[14:15]
	v_cvt_f32_f64_e32 v15, v[16:17]
	v_add_co_u32 v16, s0, v24, s6
	v_add_co_ci_u32_e64 v17, s0, s7, v25, s0
	v_mul_f64 v[24:25], v[26:27], s[2:3]
	v_mul_f64 v[4:5], v[6:7], s[2:3]
	;; [unrolled: 1-line block ×4, first 2 shown]
	v_cvt_f64_f32_e32 v[26:27], v30
	v_cvt_f64_f32_e32 v[28:29], v31
	v_mul_f32_e32 v30, v139, v9
	v_mul_f32_e32 v31, v139, v8
	s_waitcnt lgkmcnt(0)
	v_mul_f32_e32 v34, v135, v1
	v_mul_f32_e32 v32, v137, v11
	;; [unrolled: 1-line block ×3, first 2 shown]
	v_fmac_f32_e32 v30, v138, v8
	v_fma_f32 v31, v138, v9, -v31
	v_cvt_f32_f64_e32 v20, v[20:21]
	v_cvt_f32_f64_e32 v21, v[22:23]
	v_fmac_f32_e32 v34, v134, v0
	v_mul_f32_e32 v0, v135, v0
	v_mul_f32_e32 v36, v143, v13
	;; [unrolled: 1-line block ×5, first 2 shown]
	v_fmac_f32_e32 v32, v136, v10
	v_fma_f32 v33, v136, v11, -v33
	v_cvt_f64_f32_e32 v[8:9], v30
	v_cvt_f64_f32_e32 v[10:11], v31
	v_fma_f32 v0, v134, v1, -v0
	v_fmac_f32_e32 v36, v142, v12
	v_fma_f32 v12, v142, v13, -v37
	v_fmac_f32_e32 v38, v144, v2
	v_fma_f32 v39, v144, v3, -v39
	v_cvt_f64_f32_e32 v[30:31], v32
	v_cvt_f64_f32_e32 v[32:33], v33
	;; [unrolled: 1-line block ×8, first 2 shown]
	v_add_co_u32 v22, s0, v16, s4
	v_add_co_ci_u32_e64 v23, s0, s5, v17, s0
	global_store_dwordx2 v[16:17], v[14:15], off
	global_store_dwordx2 v[22:23], v[20:21], off
	v_cvt_f32_f64_e32 v15, v[4:5]
	v_mul_f64 v[4:5], v[26:27], s[2:3]
	v_mul_f64 v[16:17], v[28:29], s[2:3]
	v_mul_f64 v[8:9], v[8:9], s[2:3]
	v_mul_f64 v[10:11], v[10:11], s[2:3]
	v_add_co_u32 v20, s0, v22, s6
	v_cvt_f32_f64_e32 v14, v[24:25]
	v_add_co_ci_u32_e64 v21, s0, s7, v23, s0
	v_cvt_f32_f64_e32 v6, v[6:7]
	v_cvt_f32_f64_e32 v7, v[18:19]
	v_mul_f64 v[18:19], v[30:31], s[2:3]
	v_mul_f64 v[22:23], v[32:33], s[2:3]
	;; [unrolled: 1-line block ×8, first 2 shown]
	v_add_co_u32 v30, s0, v20, s4
	v_add_co_ci_u32_e64 v31, s0, s5, v21, s0
	v_cvt_f32_f64_e32 v4, v[4:5]
	v_cvt_f32_f64_e32 v5, v[16:17]
	v_add_co_u32 v16, s0, v30, s6
	v_add_co_ci_u32_e64 v17, s0, s7, v31, s0
	v_cvt_f32_f64_e32 v8, v[8:9]
	v_cvt_f32_f64_e32 v9, v[10:11]
	;; [unrolled: 4-line block ×3, first 2 shown]
	v_cvt_f32_f64_e32 v22, v[24:25]
	v_add_co_u32 v24, s0, v10, s6
	v_cvt_f32_f64_e32 v23, v[0:1]
	v_add_co_ci_u32_e64 v25, s0, s7, v11, s0
	v_cvt_f32_f64_e32 v2, v[2:3]
	v_cvt_f32_f64_e32 v3, v[12:13]
	;; [unrolled: 1-line block ×4, first 2 shown]
	global_store_dwordx2 v[20:21], v[14:15], off
	v_add_co_u32 v14, s0, v24, s4
	v_add_co_ci_u32_e64 v15, s0, s5, v25, s0
	global_store_dwordx2 v[30:31], v[6:7], off
	v_add_co_u32 v6, s0, v14, s6
	v_add_co_ci_u32_e64 v7, s0, s7, v15, s0
	;; [unrolled: 3-line block ×3, first 2 shown]
	global_store_dwordx2 v[10:11], v[8:9], off
	global_store_dwordx2 v[24:25], v[18:19], off
	;; [unrolled: 1-line block ×5, first 2 shown]
	s_and_b32 exec_lo, exec_lo, vcc_lo
	s_cbranch_execz .LBB0_31
; %bb.30:
	global_load_dwordx2 v[2:3], v[130:131], off offset:64
	ds_read_b64 v[4:5], v179 offset:4160
	ds_read_b64 v[6:7], v179 offset:8528
	v_add_co_u32 v0, vcc_lo, v0, s6
	v_add_co_ci_u32_e32 v1, vcc_lo, s7, v1, vcc_lo
	s_waitcnt vmcnt(0) lgkmcnt(1)
	v_mul_f32_e32 v8, v5, v3
	v_mul_f32_e32 v3, v4, v3
	v_fmac_f32_e32 v8, v4, v2
	v_fma_f32 v4, v2, v5, -v3
	v_cvt_f64_f32_e32 v[2:3], v8
	v_cvt_f64_f32_e32 v[4:5], v4
	v_mul_f64 v[2:3], v[2:3], s[2:3]
	v_mul_f64 v[4:5], v[4:5], s[2:3]
	v_cvt_f32_f64_e32 v2, v[2:3]
	v_cvt_f32_f64_e32 v3, v[4:5]
	global_store_dwordx2 v[0:1], v[2:3], off
	global_load_dwordx2 v[2:3], v[177:178], off offset:336
	v_add_co_u32 v0, vcc_lo, v0, s4
	v_add_co_ci_u32_e32 v1, vcc_lo, s5, v1, vcc_lo
	s_waitcnt vmcnt(0) lgkmcnt(0)
	v_mul_f32_e32 v4, v7, v3
	v_mul_f32_e32 v3, v6, v3
	v_fmac_f32_e32 v4, v6, v2
	v_fma_f32 v5, v2, v7, -v3
	v_cvt_f64_f32_e32 v[2:3], v4
	v_cvt_f64_f32_e32 v[4:5], v5
	v_mul_f64 v[2:3], v[2:3], s[2:3]
	v_mul_f64 v[4:5], v[4:5], s[2:3]
	v_cvt_f32_f64_e32 v2, v[2:3]
	v_cvt_f32_f64_e32 v3, v[4:5]
	global_store_dwordx2 v[0:1], v[2:3], off
.LBB0_31:
	s_endpgm
	.section	.rodata,"a",@progbits
	.p2align	6, 0x0
	.amdhsa_kernel bluestein_single_fwd_len1092_dim1_sp_op_CI_CI
		.amdhsa_group_segment_fixed_size 8736
		.amdhsa_private_segment_fixed_size 0
		.amdhsa_kernarg_size 104
		.amdhsa_user_sgpr_count 6
		.amdhsa_user_sgpr_private_segment_buffer 1
		.amdhsa_user_sgpr_dispatch_ptr 0
		.amdhsa_user_sgpr_queue_ptr 0
		.amdhsa_user_sgpr_kernarg_segment_ptr 1
		.amdhsa_user_sgpr_dispatch_id 0
		.amdhsa_user_sgpr_flat_scratch_init 0
		.amdhsa_user_sgpr_private_segment_size 0
		.amdhsa_wavefront_size32 1
		.amdhsa_uses_dynamic_stack 0
		.amdhsa_system_sgpr_private_segment_wavefront_offset 0
		.amdhsa_system_sgpr_workgroup_id_x 1
		.amdhsa_system_sgpr_workgroup_id_y 0
		.amdhsa_system_sgpr_workgroup_id_z 0
		.amdhsa_system_sgpr_workgroup_info 0
		.amdhsa_system_vgpr_workitem_id 0
		.amdhsa_next_free_vgpr 252
		.amdhsa_next_free_sgpr 16
		.amdhsa_reserve_vcc 1
		.amdhsa_reserve_flat_scratch 0
		.amdhsa_float_round_mode_32 0
		.amdhsa_float_round_mode_16_64 0
		.amdhsa_float_denorm_mode_32 3
		.amdhsa_float_denorm_mode_16_64 3
		.amdhsa_dx10_clamp 1
		.amdhsa_ieee_mode 1
		.amdhsa_fp16_overflow 0
		.amdhsa_workgroup_processor_mode 1
		.amdhsa_memory_ordered 1
		.amdhsa_forward_progress 0
		.amdhsa_shared_vgpr_count 0
		.amdhsa_exception_fp_ieee_invalid_op 0
		.amdhsa_exception_fp_denorm_src 0
		.amdhsa_exception_fp_ieee_div_zero 0
		.amdhsa_exception_fp_ieee_overflow 0
		.amdhsa_exception_fp_ieee_underflow 0
		.amdhsa_exception_fp_ieee_inexact 0
		.amdhsa_exception_int_div_zero 0
	.end_amdhsa_kernel
	.text
.Lfunc_end0:
	.size	bluestein_single_fwd_len1092_dim1_sp_op_CI_CI, .Lfunc_end0-bluestein_single_fwd_len1092_dim1_sp_op_CI_CI
                                        ; -- End function
	.section	.AMDGPU.csdata,"",@progbits
; Kernel info:
; codeLenInByte = 27132
; NumSgprs: 18
; NumVgprs: 252
; ScratchSize: 0
; MemoryBound: 0
; FloatMode: 240
; IeeeMode: 1
; LDSByteSize: 8736 bytes/workgroup (compile time only)
; SGPRBlocks: 2
; VGPRBlocks: 31
; NumSGPRsForWavesPerEU: 18
; NumVGPRsForWavesPerEU: 252
; Occupancy: 4
; WaveLimiterHint : 1
; COMPUTE_PGM_RSRC2:SCRATCH_EN: 0
; COMPUTE_PGM_RSRC2:USER_SGPR: 6
; COMPUTE_PGM_RSRC2:TRAP_HANDLER: 0
; COMPUTE_PGM_RSRC2:TGID_X_EN: 1
; COMPUTE_PGM_RSRC2:TGID_Y_EN: 0
; COMPUTE_PGM_RSRC2:TGID_Z_EN: 0
; COMPUTE_PGM_RSRC2:TIDIG_COMP_CNT: 0
	.text
	.p2alignl 6, 3214868480
	.fill 48, 4, 3214868480
	.type	__hip_cuid_4d9420587dbf4dc0,@object ; @__hip_cuid_4d9420587dbf4dc0
	.section	.bss,"aw",@nobits
	.globl	__hip_cuid_4d9420587dbf4dc0
__hip_cuid_4d9420587dbf4dc0:
	.byte	0                               ; 0x0
	.size	__hip_cuid_4d9420587dbf4dc0, 1

	.ident	"AMD clang version 19.0.0git (https://github.com/RadeonOpenCompute/llvm-project roc-6.4.0 25133 c7fe45cf4b819c5991fe208aaa96edf142730f1d)"
	.section	".note.GNU-stack","",@progbits
	.addrsig
	.addrsig_sym __hip_cuid_4d9420587dbf4dc0
	.amdgpu_metadata
---
amdhsa.kernels:
  - .args:
      - .actual_access:  read_only
        .address_space:  global
        .offset:         0
        .size:           8
        .value_kind:     global_buffer
      - .actual_access:  read_only
        .address_space:  global
        .offset:         8
        .size:           8
        .value_kind:     global_buffer
      - .actual_access:  read_only
        .address_space:  global
        .offset:         16
        .size:           8
        .value_kind:     global_buffer
      - .actual_access:  read_only
        .address_space:  global
        .offset:         24
        .size:           8
        .value_kind:     global_buffer
      - .actual_access:  read_only
        .address_space:  global
        .offset:         32
        .size:           8
        .value_kind:     global_buffer
      - .offset:         40
        .size:           8
        .value_kind:     by_value
      - .address_space:  global
        .offset:         48
        .size:           8
        .value_kind:     global_buffer
      - .address_space:  global
        .offset:         56
        .size:           8
        .value_kind:     global_buffer
      - .address_space:  global
        .offset:         64
        .size:           8
        .value_kind:     global_buffer
      - .address_space:  global
        .offset:         72
        .size:           8
        .value_kind:     global_buffer
      - .offset:         80
        .size:           4
        .value_kind:     by_value
      - .address_space:  global
        .offset:         88
        .size:           8
        .value_kind:     global_buffer
      - .address_space:  global
        .offset:         96
        .size:           8
        .value_kind:     global_buffer
    .group_segment_fixed_size: 8736
    .kernarg_segment_align: 8
    .kernarg_segment_size: 104
    .language:       OpenCL C
    .language_version:
      - 2
      - 0
    .max_flat_workgroup_size: 52
    .name:           bluestein_single_fwd_len1092_dim1_sp_op_CI_CI
    .private_segment_fixed_size: 0
    .sgpr_count:     18
    .sgpr_spill_count: 0
    .symbol:         bluestein_single_fwd_len1092_dim1_sp_op_CI_CI.kd
    .uniform_work_group_size: 1
    .uses_dynamic_stack: false
    .vgpr_count:     252
    .vgpr_spill_count: 0
    .wavefront_size: 32
    .workgroup_processor_mode: 1
amdhsa.target:   amdgcn-amd-amdhsa--gfx1030
amdhsa.version:
  - 1
  - 2
...

	.end_amdgpu_metadata
